;; amdgpu-corpus repo=ROCm/rocFFT kind=compiled arch=gfx1201 opt=O3
	.text
	.amdgcn_target "amdgcn-amd-amdhsa--gfx1201"
	.amdhsa_code_object_version 6
	.protected	fft_rtc_back_len850_factors_10_5_17_wgs_85_tpt_85_sp_op_CI_CI_sbrr_dirReg ; -- Begin function fft_rtc_back_len850_factors_10_5_17_wgs_85_tpt_85_sp_op_CI_CI_sbrr_dirReg
	.globl	fft_rtc_back_len850_factors_10_5_17_wgs_85_tpt_85_sp_op_CI_CI_sbrr_dirReg
	.p2align	8
	.type	fft_rtc_back_len850_factors_10_5_17_wgs_85_tpt_85_sp_op_CI_CI_sbrr_dirReg,@function
fft_rtc_back_len850_factors_10_5_17_wgs_85_tpt_85_sp_op_CI_CI_sbrr_dirReg: ; @fft_rtc_back_len850_factors_10_5_17_wgs_85_tpt_85_sp_op_CI_CI_sbrr_dirReg
; %bb.0:
	s_clause 0x2
	s_load_b128 s[12:15], s[0:1], 0x18
	s_load_b128 s[8:11], s[0:1], 0x0
	;; [unrolled: 1-line block ×3, first 2 shown]
	v_mul_u32_u24_e32 v1, 0x304, v0
	v_mov_b32_e32 v4, 0
	v_mov_b32_e32 v5, 0
	s_wait_kmcnt 0x0
	s_load_b64 s[18:19], s[12:13], 0x0
	s_load_b64 s[16:17], s[14:15], 0x0
	v_lshrrev_b32_e32 v2, 16, v1
	v_mov_b32_e32 v1, 0
	v_cmp_lt_u64_e64 s2, s[10:11], 2
	s_delay_alu instid0(VALU_DEP_2) | instskip(NEXT) | instid1(VALU_DEP_2)
	v_dual_mov_b32 v7, v1 :: v_dual_add_nc_u32 v6, ttmp9, v2
	s_and_b32 vcc_lo, exec_lo, s2
	s_cbranch_vccnz .LBB0_8
; %bb.1:
	s_load_b64 s[2:3], s[0:1], 0x10
	v_mov_b32_e32 v4, 0
	v_mov_b32_e32 v5, 0
	s_add_nc_u64 s[20:21], s[14:15], 8
	s_add_nc_u64 s[22:23], s[12:13], 8
	s_mov_b64 s[24:25], 1
	s_delay_alu instid0(VALU_DEP_1)
	v_dual_mov_b32 v33, v5 :: v_dual_mov_b32 v32, v4
	s_wait_kmcnt 0x0
	s_add_nc_u64 s[26:27], s[2:3], 8
	s_mov_b32 s3, 0
.LBB0_2:                                ; =>This Inner Loop Header: Depth=1
	s_load_b64 s[28:29], s[26:27], 0x0
                                        ; implicit-def: $vgpr34_vgpr35
	s_mov_b32 s2, exec_lo
	s_wait_kmcnt 0x0
	v_or_b32_e32 v2, s29, v7
	s_delay_alu instid0(VALU_DEP_1)
	v_cmpx_ne_u64_e32 0, v[1:2]
	s_wait_alu 0xfffe
	s_xor_b32 s30, exec_lo, s2
	s_cbranch_execz .LBB0_4
; %bb.3:                                ;   in Loop: Header=BB0_2 Depth=1
	s_cvt_f32_u32 s2, s28
	s_cvt_f32_u32 s31, s29
	s_sub_nc_u64 s[36:37], 0, s[28:29]
	s_wait_alu 0xfffe
	s_delay_alu instid0(SALU_CYCLE_1) | instskip(SKIP_1) | instid1(SALU_CYCLE_2)
	s_fmamk_f32 s2, s31, 0x4f800000, s2
	s_wait_alu 0xfffe
	v_s_rcp_f32 s2, s2
	s_delay_alu instid0(TRANS32_DEP_1) | instskip(SKIP_1) | instid1(SALU_CYCLE_2)
	s_mul_f32 s2, s2, 0x5f7ffffc
	s_wait_alu 0xfffe
	s_mul_f32 s31, s2, 0x2f800000
	s_wait_alu 0xfffe
	s_delay_alu instid0(SALU_CYCLE_2) | instskip(SKIP_1) | instid1(SALU_CYCLE_2)
	s_trunc_f32 s31, s31
	s_wait_alu 0xfffe
	s_fmamk_f32 s2, s31, 0xcf800000, s2
	s_cvt_u32_f32 s35, s31
	s_wait_alu 0xfffe
	s_delay_alu instid0(SALU_CYCLE_1) | instskip(SKIP_1) | instid1(SALU_CYCLE_2)
	s_cvt_u32_f32 s34, s2
	s_wait_alu 0xfffe
	s_mul_u64 s[38:39], s[36:37], s[34:35]
	s_wait_alu 0xfffe
	s_mul_hi_u32 s41, s34, s39
	s_mul_i32 s40, s34, s39
	s_mul_hi_u32 s2, s34, s38
	s_mul_i32 s33, s35, s38
	s_wait_alu 0xfffe
	s_add_nc_u64 s[40:41], s[2:3], s[40:41]
	s_mul_hi_u32 s31, s35, s38
	s_mul_hi_u32 s42, s35, s39
	s_add_co_u32 s2, s40, s33
	s_wait_alu 0xfffe
	s_add_co_ci_u32 s2, s41, s31
	s_mul_i32 s38, s35, s39
	s_add_co_ci_u32 s39, s42, 0
	s_wait_alu 0xfffe
	s_add_nc_u64 s[38:39], s[2:3], s[38:39]
	s_wait_alu 0xfffe
	v_add_co_u32 v2, s2, s34, s38
	s_delay_alu instid0(VALU_DEP_1) | instskip(SKIP_1) | instid1(VALU_DEP_1)
	s_cmp_lg_u32 s2, 0
	s_add_co_ci_u32 s35, s35, s39
	v_readfirstlane_b32 s34, v2
	s_wait_alu 0xfffe
	s_delay_alu instid0(VALU_DEP_1)
	s_mul_u64 s[36:37], s[36:37], s[34:35]
	s_wait_alu 0xfffe
	s_mul_hi_u32 s39, s34, s37
	s_mul_i32 s38, s34, s37
	s_mul_hi_u32 s2, s34, s36
	s_mul_i32 s33, s35, s36
	s_wait_alu 0xfffe
	s_add_nc_u64 s[38:39], s[2:3], s[38:39]
	s_mul_hi_u32 s31, s35, s36
	s_mul_hi_u32 s34, s35, s37
	s_wait_alu 0xfffe
	s_add_co_u32 s2, s38, s33
	s_add_co_ci_u32 s2, s39, s31
	s_mul_i32 s36, s35, s37
	s_add_co_ci_u32 s37, s34, 0
	s_wait_alu 0xfffe
	s_add_nc_u64 s[36:37], s[2:3], s[36:37]
	s_wait_alu 0xfffe
	v_add_co_u32 v8, s2, v2, s36
	s_delay_alu instid0(VALU_DEP_1) | instskip(SKIP_1) | instid1(VALU_DEP_1)
	s_cmp_lg_u32 s2, 0
	s_add_co_ci_u32 s2, s35, s37
	v_mul_hi_u32 v12, v6, v8
	s_wait_alu 0xfffe
	v_mad_co_u64_u32 v[2:3], null, v6, s2, 0
	v_mad_co_u64_u32 v[8:9], null, v7, v8, 0
	;; [unrolled: 1-line block ×3, first 2 shown]
	s_delay_alu instid0(VALU_DEP_3) | instskip(SKIP_1) | instid1(VALU_DEP_4)
	v_add_co_u32 v2, vcc_lo, v12, v2
	s_wait_alu 0xfffd
	v_add_co_ci_u32_e32 v3, vcc_lo, 0, v3, vcc_lo
	s_delay_alu instid0(VALU_DEP_2) | instskip(SKIP_1) | instid1(VALU_DEP_2)
	v_add_co_u32 v2, vcc_lo, v2, v8
	s_wait_alu 0xfffd
	v_add_co_ci_u32_e32 v2, vcc_lo, v3, v9, vcc_lo
	s_wait_alu 0xfffd
	v_add_co_ci_u32_e32 v3, vcc_lo, 0, v11, vcc_lo
	s_delay_alu instid0(VALU_DEP_2) | instskip(SKIP_1) | instid1(VALU_DEP_2)
	v_add_co_u32 v8, vcc_lo, v2, v10
	s_wait_alu 0xfffd
	v_add_co_ci_u32_e32 v9, vcc_lo, 0, v3, vcc_lo
	s_delay_alu instid0(VALU_DEP_2) | instskip(SKIP_1) | instid1(VALU_DEP_3)
	v_mul_lo_u32 v10, s29, v8
	v_mad_co_u64_u32 v[2:3], null, s28, v8, 0
	v_mul_lo_u32 v11, s28, v9
	s_delay_alu instid0(VALU_DEP_2) | instskip(NEXT) | instid1(VALU_DEP_2)
	v_sub_co_u32 v2, vcc_lo, v6, v2
	v_add3_u32 v3, v3, v11, v10
	s_delay_alu instid0(VALU_DEP_1) | instskip(SKIP_1) | instid1(VALU_DEP_1)
	v_sub_nc_u32_e32 v10, v7, v3
	s_wait_alu 0xfffd
	v_subrev_co_ci_u32_e64 v10, s2, s29, v10, vcc_lo
	v_add_co_u32 v11, s2, v8, 2
	s_wait_alu 0xf1ff
	v_add_co_ci_u32_e64 v12, s2, 0, v9, s2
	v_sub_co_u32 v13, s2, v2, s28
	v_sub_co_ci_u32_e32 v3, vcc_lo, v7, v3, vcc_lo
	s_wait_alu 0xf1ff
	v_subrev_co_ci_u32_e64 v10, s2, 0, v10, s2
	s_delay_alu instid0(VALU_DEP_3) | instskip(NEXT) | instid1(VALU_DEP_3)
	v_cmp_le_u32_e32 vcc_lo, s28, v13
	v_cmp_eq_u32_e64 s2, s29, v3
	s_wait_alu 0xfffd
	v_cndmask_b32_e64 v13, 0, -1, vcc_lo
	v_cmp_le_u32_e32 vcc_lo, s29, v10
	s_wait_alu 0xfffd
	v_cndmask_b32_e64 v14, 0, -1, vcc_lo
	v_cmp_le_u32_e32 vcc_lo, s28, v2
	;; [unrolled: 3-line block ×3, first 2 shown]
	s_wait_alu 0xfffd
	v_cndmask_b32_e64 v15, 0, -1, vcc_lo
	v_cmp_eq_u32_e32 vcc_lo, s29, v10
	s_wait_alu 0xf1ff
	s_delay_alu instid0(VALU_DEP_2)
	v_cndmask_b32_e64 v2, v15, v2, s2
	s_wait_alu 0xfffd
	v_cndmask_b32_e32 v10, v14, v13, vcc_lo
	v_add_co_u32 v13, vcc_lo, v8, 1
	s_wait_alu 0xfffd
	v_add_co_ci_u32_e32 v14, vcc_lo, 0, v9, vcc_lo
	s_delay_alu instid0(VALU_DEP_3) | instskip(SKIP_1) | instid1(VALU_DEP_2)
	v_cmp_ne_u32_e32 vcc_lo, 0, v10
	s_wait_alu 0xfffd
	v_dual_cndmask_b32 v3, v14, v12 :: v_dual_cndmask_b32 v10, v13, v11
	v_cmp_ne_u32_e32 vcc_lo, 0, v2
	s_wait_alu 0xfffd
	s_delay_alu instid0(VALU_DEP_2)
	v_dual_cndmask_b32 v35, v9, v3 :: v_dual_cndmask_b32 v34, v8, v10
.LBB0_4:                                ;   in Loop: Header=BB0_2 Depth=1
	s_wait_alu 0xfffe
	s_and_not1_saveexec_b32 s2, s30
	s_cbranch_execz .LBB0_6
; %bb.5:                                ;   in Loop: Header=BB0_2 Depth=1
	v_cvt_f32_u32_e32 v2, s28
	s_sub_co_i32 s30, 0, s28
	v_mov_b32_e32 v35, v1
	s_delay_alu instid0(VALU_DEP_2) | instskip(NEXT) | instid1(TRANS32_DEP_1)
	v_rcp_iflag_f32_e32 v2, v2
	v_mul_f32_e32 v2, 0x4f7ffffe, v2
	s_delay_alu instid0(VALU_DEP_1) | instskip(SKIP_1) | instid1(VALU_DEP_1)
	v_cvt_u32_f32_e32 v2, v2
	s_wait_alu 0xfffe
	v_mul_lo_u32 v3, s30, v2
	s_delay_alu instid0(VALU_DEP_1) | instskip(NEXT) | instid1(VALU_DEP_1)
	v_mul_hi_u32 v3, v2, v3
	v_add_nc_u32_e32 v2, v2, v3
	s_delay_alu instid0(VALU_DEP_1) | instskip(NEXT) | instid1(VALU_DEP_1)
	v_mul_hi_u32 v2, v6, v2
	v_mul_lo_u32 v3, v2, s28
	v_add_nc_u32_e32 v8, 1, v2
	s_delay_alu instid0(VALU_DEP_2) | instskip(NEXT) | instid1(VALU_DEP_1)
	v_sub_nc_u32_e32 v3, v6, v3
	v_subrev_nc_u32_e32 v9, s28, v3
	v_cmp_le_u32_e32 vcc_lo, s28, v3
	s_wait_alu 0xfffd
	s_delay_alu instid0(VALU_DEP_2) | instskip(NEXT) | instid1(VALU_DEP_1)
	v_dual_cndmask_b32 v3, v3, v9 :: v_dual_cndmask_b32 v2, v2, v8
	v_cmp_le_u32_e32 vcc_lo, s28, v3
	s_delay_alu instid0(VALU_DEP_2) | instskip(SKIP_1) | instid1(VALU_DEP_1)
	v_add_nc_u32_e32 v8, 1, v2
	s_wait_alu 0xfffd
	v_cndmask_b32_e32 v34, v2, v8, vcc_lo
.LBB0_6:                                ;   in Loop: Header=BB0_2 Depth=1
	s_wait_alu 0xfffe
	s_or_b32 exec_lo, exec_lo, s2
	v_mul_lo_u32 v8, v35, s28
	s_delay_alu instid0(VALU_DEP_2)
	v_mul_lo_u32 v9, v34, s29
	s_load_b64 s[30:31], s[22:23], 0x0
	v_mad_co_u64_u32 v[2:3], null, v34, s28, 0
	s_load_b64 s[28:29], s[20:21], 0x0
	s_add_nc_u64 s[24:25], s[24:25], 1
	s_add_nc_u64 s[20:21], s[20:21], 8
	s_wait_alu 0xfffe
	v_cmp_ge_u64_e64 s2, s[24:25], s[10:11]
	s_add_nc_u64 s[22:23], s[22:23], 8
	s_add_nc_u64 s[26:27], s[26:27], 8
	v_add3_u32 v3, v3, v9, v8
	v_sub_co_u32 v2, vcc_lo, v6, v2
	s_wait_alu 0xfffd
	s_delay_alu instid0(VALU_DEP_2) | instskip(SKIP_2) | instid1(VALU_DEP_1)
	v_sub_co_ci_u32_e32 v3, vcc_lo, v7, v3, vcc_lo
	s_and_b32 vcc_lo, exec_lo, s2
	s_wait_kmcnt 0x0
	v_mul_lo_u32 v6, s30, v3
	v_mul_lo_u32 v7, s31, v2
	v_mad_co_u64_u32 v[4:5], null, s30, v2, v[4:5]
	v_mul_lo_u32 v3, s28, v3
	v_mul_lo_u32 v8, s29, v2
	v_mad_co_u64_u32 v[32:33], null, s28, v2, v[32:33]
	s_delay_alu instid0(VALU_DEP_4) | instskip(NEXT) | instid1(VALU_DEP_2)
	v_add3_u32 v5, v7, v5, v6
	v_add3_u32 v33, v8, v33, v3
	s_wait_alu 0xfffe
	s_cbranch_vccnz .LBB0_9
; %bb.7:                                ;   in Loop: Header=BB0_2 Depth=1
	v_dual_mov_b32 v6, v34 :: v_dual_mov_b32 v7, v35
	s_branch .LBB0_2
.LBB0_8:
	v_dual_mov_b32 v33, v5 :: v_dual_mov_b32 v32, v4
	s_delay_alu instid0(VALU_DEP_2)
	v_dual_mov_b32 v35, v7 :: v_dual_mov_b32 v34, v6
.LBB0_9:
	s_load_b64 s[0:1], s[0:1], 0x28
	v_mul_hi_u32 v2, 0x3030304, v0
	s_lshl_b64 s[10:11], s[10:11], 3
                                        ; implicit-def: $vgpr38
                                        ; implicit-def: $vgpr21
	s_wait_kmcnt 0x0
	v_cmp_gt_u64_e32 vcc_lo, s[0:1], v[34:35]
	v_cmp_le_u64_e64 s0, s[0:1], v[34:35]
	s_delay_alu instid0(VALU_DEP_1)
	s_and_saveexec_b32 s1, s0
	s_wait_alu 0xfffe
	s_xor_b32 s0, exec_lo, s1
; %bb.10:
	v_mul_u32_u24_e32 v1, 0x55, v2
                                        ; implicit-def: $vgpr2
                                        ; implicit-def: $vgpr4_vgpr5
	s_delay_alu instid0(VALU_DEP_1) | instskip(NEXT) | instid1(VALU_DEP_1)
	v_sub_nc_u32_e32 v38, v0, v1
                                        ; implicit-def: $vgpr0
	v_add_nc_u32_e32 v21, 0x55, v38
; %bb.11:
	s_wait_alu 0xfffe
	s_or_saveexec_b32 s1, s0
	s_add_nc_u64 s[2:3], s[14:15], s[10:11]
                                        ; implicit-def: $vgpr1
                                        ; implicit-def: $vgpr3
                                        ; implicit-def: $vgpr14
                                        ; implicit-def: $vgpr6
                                        ; implicit-def: $vgpr16
                                        ; implicit-def: $vgpr12
                                        ; implicit-def: $vgpr18
                                        ; implicit-def: $vgpr10
                                        ; implicit-def: $vgpr20
                                        ; implicit-def: $vgpr8
	s_wait_alu 0xfffe
	s_xor_b32 exec_lo, exec_lo, s1
	s_cbranch_execz .LBB0_13
; %bb.12:
	s_add_nc_u64 s[10:11], s[12:13], s[10:11]
	v_mul_u32_u24_e32 v1, 0x55, v2
	s_load_b64 s[10:11], s[10:11], 0x0
	s_delay_alu instid0(VALU_DEP_1) | instskip(SKIP_1) | instid1(VALU_DEP_2)
	v_sub_nc_u32_e32 v38, v0, v1
	v_lshlrev_b64_e32 v[0:1], 3, v[4:5]
	v_add_nc_u32_e32 v19, 0x154, v38
	v_mad_co_u64_u32 v[2:3], null, s18, v38, 0
	v_add_nc_u32_e32 v17, 0xaa, v38
	v_add_nc_u32_e32 v22, 0x1fe, v38
	s_delay_alu instid0(VALU_DEP_4) | instskip(SKIP_1) | instid1(VALU_DEP_4)
	v_mad_co_u64_u32 v[15:16], null, s18, v19, 0
	v_add_nc_u32_e32 v21, 0x55, v38
	v_mad_co_u64_u32 v[6:7], null, s18, v17, 0
	v_add_nc_u32_e32 v24, 0x253, v38
	s_wait_kmcnt 0x0
	v_mul_lo_u32 v14, s11, v34
	v_mad_co_u64_u32 v[4:5], null, s18, v21, 0
	v_mul_lo_u32 v20, s10, v35
	v_mad_co_u64_u32 v[8:9], null, s10, v34, 0
	v_add_nc_u32_e32 v18, 0xff, v38
	s_delay_alu instid0(VALU_DEP_4) | instskip(SKIP_1) | instid1(VALU_DEP_3)
	v_mad_co_u64_u32 v[12:13], null, s19, v38, v[3:4]
	v_mov_b32_e32 v3, v5
	v_mad_co_u64_u32 v[10:11], null, s18, v18, 0
	v_add3_u32 v9, v9, v20, v14
	v_mov_b32_e32 v5, v7
	s_delay_alu instid0(VALU_DEP_4) | instskip(SKIP_1) | instid1(VALU_DEP_4)
	v_mad_co_u64_u32 v[13:14], null, s19, v21, v[3:4]
	v_mov_b32_e32 v3, v12
	v_lshlrev_b64_e32 v[8:9], 3, v[8:9]
	v_mov_b32_e32 v7, v11
	v_mad_co_u64_u32 v[11:12], null, s19, v17, v[5:6]
	s_delay_alu instid0(VALU_DEP_4) | instskip(SKIP_1) | instid1(VALU_DEP_4)
	v_lshlrev_b64_e32 v[2:3], 3, v[2:3]
	v_add_nc_u32_e32 v12, 0x1a9, v38
	v_mad_co_u64_u32 v[17:18], null, s19, v18, v[7:8]
	v_add_co_u32 v7, s0, s4, v8
	s_wait_alu 0xf1ff
	v_add_co_ci_u32_e64 v8, s0, s5, v9, s0
	s_delay_alu instid0(VALU_DEP_2)
	v_add_co_u32 v29, s0, v7, v0
	v_mov_b32_e32 v7, v11
	v_mov_b32_e32 v11, v17
	v_mad_co_u64_u32 v[17:18], null, s18, v22, 0
	v_mov_b32_e32 v5, v13
	s_wait_alu 0xf1ff
	v_add_co_ci_u32_e64 v30, s0, v8, v1, s0
	v_add_co_u32 v2, s0, v29, v2
	s_delay_alu instid0(VALU_DEP_3) | instskip(SKIP_1) | instid1(VALU_DEP_3)
	v_lshlrev_b64_e32 v[0:1], 3, v[4:5]
	s_wait_alu 0xf1ff
	v_add_co_ci_u32_e64 v3, s0, v30, v3, s0
	v_lshlrev_b64_e32 v[8:9], 3, v[10:11]
	v_mad_co_u64_u32 v[10:11], null, s18, v12, 0
	s_delay_alu instid0(VALU_DEP_4) | instskip(SKIP_3) | instid1(VALU_DEP_2)
	v_add_co_u32 v4, s0, v29, v0
	v_mov_b32_e32 v0, v16
	s_wait_alu 0xf1ff
	v_add_co_ci_u32_e64 v5, s0, v30, v1, s0
	v_mad_co_u64_u32 v[0:1], null, s19, v19, v[0:1]
	v_mad_co_u64_u32 v[19:20], null, s18, v24, 0
	s_delay_alu instid0(VALU_DEP_2) | instskip(SKIP_1) | instid1(VALU_DEP_1)
	v_mov_b32_e32 v16, v0
	v_mov_b32_e32 v0, v11
	v_mad_co_u64_u32 v[11:12], null, s19, v12, v[0:1]
	v_add_nc_u32_e32 v12, 0x2a8, v38
	v_lshlrev_b64_e32 v[6:7], 3, v[6:7]
	s_delay_alu instid0(VALU_DEP_1) | instskip(SKIP_1) | instid1(VALU_DEP_2)
	v_add_co_u32 v6, s0, v29, v6
	s_wait_alu 0xf1ff
	v_add_co_ci_u32_e64 v7, s0, v30, v7, s0
	v_add_co_u32 v8, s0, v29, v8
	s_wait_alu 0xf1ff
	v_add_co_ci_u32_e64 v9, s0, v30, v9, s0
	s_clause 0x3
	global_load_b64 v[0:1], v[2:3], off
	global_load_b64 v[2:3], v[4:5], off
	;; [unrolled: 1-line block ×4, first 2 shown]
	v_mov_b32_e32 v4, v18
	v_lshlrev_b64_e32 v[7:8], 3, v[15:16]
	v_lshlrev_b64_e32 v[9:10], 3, v[10:11]
	s_delay_alu instid0(VALU_DEP_2) | instskip(SKIP_1) | instid1(VALU_DEP_3)
	v_add_co_u32 v7, s0, v29, v7
	s_wait_alu 0xf1ff
	v_add_co_ci_u32_e64 v8, s0, v30, v8, s0
	s_delay_alu instid0(VALU_DEP_3)
	v_add_co_u32 v9, s0, v29, v9
	s_wait_alu 0xf1ff
	v_add_co_ci_u32_e64 v10, s0, v30, v10, s0
	s_wait_loadcnt 0x0
	v_mad_co_u64_u32 v[15:16], null, s19, v22, v[4:5]
	v_mad_co_u64_u32 v[22:23], null, s18, v12, 0
	v_dual_mov_b32 v4, v20 :: v_dual_add_nc_u32 v27, 0x2fd, v38
	s_delay_alu instid0(VALU_DEP_1) | instskip(NEXT) | instid1(VALU_DEP_3)
	v_mad_co_u64_u32 v[24:25], null, s19, v24, v[4:5]
	v_mov_b32_e32 v4, v23
	s_delay_alu instid0(VALU_DEP_3) | instskip(NEXT) | instid1(VALU_DEP_2)
	v_mad_co_u64_u32 v[25:26], null, s18, v27, 0
	v_mad_co_u64_u32 v[11:12], null, s19, v12, v[4:5]
	v_mov_b32_e32 v18, v15
	v_mov_b32_e32 v20, v24
	s_delay_alu instid0(VALU_DEP_3) | instskip(NEXT) | instid1(VALU_DEP_3)
	v_dual_mov_b32 v4, v26 :: v_dual_mov_b32 v23, v11
	v_lshlrev_b64_e32 v[15:16], 3, v[17:18]
	s_delay_alu instid0(VALU_DEP_2) | instskip(NEXT) | instid1(VALU_DEP_4)
	v_mad_co_u64_u32 v[17:18], null, s19, v27, v[4:5]
	v_lshlrev_b64_e32 v[18:19], 3, v[19:20]
	s_delay_alu instid0(VALU_DEP_4) | instskip(NEXT) | instid1(VALU_DEP_4)
	v_lshlrev_b64_e32 v[11:12], 3, v[22:23]
	v_add_co_u32 v27, s0, v29, v15
	s_wait_alu 0xf1ff
	v_add_co_ci_u32_e64 v28, s0, v30, v16, s0
	v_mov_b32_e32 v26, v17
	v_add_co_u32 v22, s0, v29, v18
	s_wait_alu 0xf1ff
	v_add_co_ci_u32_e64 v23, s0, v30, v19, s0
	s_delay_alu instid0(VALU_DEP_3) | instskip(SKIP_3) | instid1(VALU_DEP_3)
	v_lshlrev_b64_e32 v[15:16], 3, v[25:26]
	v_add_co_u32 v19, s0, v29, v11
	s_wait_alu 0xf1ff
	v_add_co_ci_u32_e64 v20, s0, v30, v12, s0
	v_add_co_u32 v24, s0, v29, v15
	s_wait_alu 0xf1ff
	v_add_co_ci_u32_e64 v25, s0, v30, v16, s0
	s_clause 0x5
	global_load_b64 v[15:16], v[7:8], off
	global_load_b64 v[11:12], v[9:10], off
	;; [unrolled: 1-line block ×6, first 2 shown]
.LBB0_13:
	s_or_b32 exec_lo, exec_lo, s1
	s_wait_loadcnt 0x1
	v_dual_add_f32 v4, v15, v17 :: v_dual_sub_f32 v23, v14, v20
	v_dual_add_f32 v22, v0, v13 :: v_dual_add_f32 v27, v13, v19
	v_dual_sub_f32 v24, v16, v18 :: v_dual_sub_f32 v29, v15, v13
	s_delay_alu instid0(VALU_DEP_3) | instskip(SKIP_3) | instid1(VALU_DEP_3)
	v_fma_f32 v25, -0.5, v4, v0
	v_sub_f32_e32 v26, v19, v17
	v_add_f32_e32 v30, v1, v14
	s_load_b64 s[2:3], s[2:3], 0x0
	v_dual_add_f32 v31, v16, v18 :: v_dual_fmamk_f32 v28, v23, 0xbf737871, v25
	v_fmac_f32_e32 v25, 0x3f737871, v23
	v_add_f32_e32 v22, v22, v15
	v_cmp_gt_u32_e64 s0, 50, v38
	s_delay_alu instid0(VALU_DEP_4) | instskip(NEXT) | instid1(VALU_DEP_4)
	v_fmac_f32_e32 v28, 0xbf167918, v24
	v_dual_fmac_f32 v25, 0x3f167918, v24 :: v_dual_fmac_f32 v0, -0.5, v27
	v_sub_f32_e32 v4, v13, v15
	v_dual_add_f32 v22, v22, v17 :: v_dual_sub_f32 v13, v13, v19
	v_sub_f32_e32 v15, v15, v17
	s_delay_alu instid0(VALU_DEP_4) | instskip(NEXT) | instid1(VALU_DEP_4)
	v_fmamk_f32 v27, v24, 0x3f737871, v0
	v_add_f32_e32 v4, v4, v26
	v_dual_sub_f32 v26, v17, v19 :: v_dual_sub_f32 v17, v14, v16
	s_delay_alu instid0(VALU_DEP_3) | instskip(NEXT) | instid1(VALU_DEP_3)
	v_fmac_f32_e32 v27, 0xbf167918, v23
	v_fmac_f32_e32 v25, 0x3e9e377a, v4
	;; [unrolled: 1-line block ×3, first 2 shown]
	v_add_f32_e32 v24, v30, v16
	s_delay_alu instid0(VALU_DEP_2) | instskip(SKIP_1) | instid1(VALU_DEP_3)
	v_dual_fmac_f32 v0, 0x3f167918, v23 :: v_dual_add_f32 v23, v14, v20
	v_fmac_f32_e32 v28, 0x3e9e377a, v4
	v_add_f32_e32 v4, v24, v18
	v_add_f32_e32 v26, v29, v26
	v_fma_f32 v29, -0.5, v31, v1
	v_dual_fmac_f32 v1, -0.5, v23 :: v_dual_sub_f32 v24, v20, v18
	s_delay_alu instid0(VALU_DEP_4) | instskip(NEXT) | instid1(VALU_DEP_4)
	v_dual_add_f32 v23, v4, v20 :: v_dual_add_f32 v22, v22, v19
	v_fmac_f32_e32 v27, 0x3e9e377a, v26
	s_delay_alu instid0(VALU_DEP_4) | instskip(NEXT) | instid1(VALU_DEP_4)
	v_fmamk_f32 v19, v13, 0x3f737871, v29
	v_dual_fmac_f32 v29, 0xbf737871, v13 :: v_dual_add_f32 v4, v17, v24
	v_dual_fmamk_f32 v17, v15, 0xbf737871, v1 :: v_dual_sub_f32 v14, v16, v14
	v_fmac_f32_e32 v1, 0x3f737871, v15
	s_delay_alu instid0(VALU_DEP_3) | instskip(SKIP_1) | instid1(VALU_DEP_4)
	v_fmac_f32_e32 v29, 0xbf167918, v15
	v_fmac_f32_e32 v19, 0x3f167918, v15
	v_dual_fmac_f32 v17, 0x3f167918, v13 :: v_dual_sub_f32 v16, v18, v20
	s_delay_alu instid0(VALU_DEP_3) | instskip(SKIP_1) | instid1(VALU_DEP_3)
	v_dual_add_f32 v18, v11, v9 :: v_dual_fmac_f32 v29, 0x3e9e377a, v4
	v_dual_add_f32 v15, v2, v5 :: v_dual_sub_f32 v20, v5, v11
	v_dual_add_f32 v14, v14, v16 :: v_dual_fmac_f32 v1, 0xbf167918, v13
	s_delay_alu instid0(VALU_DEP_3) | instskip(SKIP_4) | instid1(VALU_DEP_3)
	v_fma_f32 v16, -0.5, v18, v2
	s_wait_loadcnt 0x0
	v_sub_f32_e32 v18, v6, v8
	v_dual_fmac_f32 v0, 0x3e9e377a, v26 :: v_dual_fmac_f32 v19, 0x3e9e377a, v4
	v_dual_add_f32 v4, v15, v11 :: v_dual_sub_f32 v15, v12, v10
	v_dual_fmamk_f32 v13, v18, 0xbf737871, v16 :: v_dual_sub_f32 v24, v7, v9
	v_fmac_f32_e32 v16, 0x3f737871, v18
	s_delay_alu instid0(VALU_DEP_3) | instskip(NEXT) | instid1(VALU_DEP_3)
	v_dual_add_f32 v4, v4, v9 :: v_dual_fmac_f32 v1, 0x3e9e377a, v14
	v_dual_fmac_f32 v13, 0xbf167918, v15 :: v_dual_add_f32 v20, v20, v24
	v_dual_add_f32 v26, v5, v7 :: v_dual_fmac_f32 v17, 0x3e9e377a, v14
	s_delay_alu instid0(VALU_DEP_3) | instskip(NEXT) | instid1(VALU_DEP_3)
	v_add_f32_e32 v14, v4, v7
	v_dual_add_f32 v4, v12, v10 :: v_dual_fmac_f32 v13, 0x3e9e377a, v20
	s_delay_alu instid0(VALU_DEP_3) | instskip(SKIP_3) | instid1(VALU_DEP_1)
	v_fmac_f32_e32 v2, -0.5, v26
	v_sub_f32_e32 v24, v11, v5
	v_sub_f32_e32 v26, v9, v7
	v_dual_fmac_f32 v16, 0x3f167918, v15 :: v_dual_sub_f32 v9, v11, v9
	v_dual_add_f32 v11, v3, v6 :: v_dual_fmac_f32 v16, 0x3e9e377a, v20
	v_fmamk_f32 v20, v15, 0x3f737871, v2
	v_fmac_f32_e32 v2, 0xbf737871, v15
	v_fma_f32 v15, -0.5, v4, v3
	v_dual_sub_f32 v4, v5, v7 :: v_dual_add_f32 v7, v6, v8
	v_add_f32_e32 v5, v24, v26
	s_delay_alu instid0(VALU_DEP_2) | instskip(NEXT) | instid1(VALU_DEP_1)
	v_dual_fmac_f32 v2, 0x3f167918, v18 :: v_dual_fmac_f32 v3, -0.5, v7
	v_dual_sub_f32 v7, v8, v10 :: v_dual_fmac_f32 v2, 0x3e9e377a, v5
	s_delay_alu instid0(VALU_DEP_2) | instskip(SKIP_4) | instid1(VALU_DEP_1)
	v_fmamk_f32 v24, v9, 0xbf737871, v3
	v_fmac_f32_e32 v3, 0x3f737871, v9
	v_fmac_f32_e32 v20, 0xbf167918, v18
	v_fmamk_f32 v18, v4, 0x3f737871, v15
	v_fmac_f32_e32 v15, 0xbf737871, v4
	v_fmac_f32_e32 v15, 0xbf167918, v9
	;; [unrolled: 1-line block ×3, first 2 shown]
	v_dual_fmac_f32 v20, 0x3e9e377a, v5 :: v_dual_sub_f32 v5, v6, v12
	s_delay_alu instid0(VALU_DEP_1) | instskip(NEXT) | instid1(VALU_DEP_1)
	v_dual_add_f32 v5, v5, v7 :: v_dual_sub_f32 v6, v12, v6
	v_dual_fmac_f32 v15, 0x3e9e377a, v5 :: v_dual_sub_f32 v26, v10, v8
	s_delay_alu instid0(VALU_DEP_1) | instskip(SKIP_2) | instid1(VALU_DEP_3)
	v_mul_f32_e32 v37, 0xbf167918, v15
	v_mul_f32_e32 v41, 0xbf4f1bbd, v15
	v_fmac_f32_e32 v18, 0x3f167918, v9
	v_dual_add_f32 v6, v6, v26 :: v_dual_fmac_f32 v37, 0xbf4f1bbd, v16
	s_delay_alu instid0(VALU_DEP_3) | instskip(NEXT) | instid1(VALU_DEP_2)
	v_fmac_f32_e32 v41, 0x3f167918, v16
	v_dual_fmac_f32 v18, 0x3e9e377a, v5 :: v_dual_fmac_f32 v3, 0x3e9e377a, v6
	s_delay_alu instid0(VALU_DEP_1) | instskip(NEXT) | instid1(VALU_DEP_2)
	v_mul_f32_e32 v26, 0xbf167918, v18
	v_mul_f32_e32 v31, 0xbf737871, v3
	v_fmac_f32_e32 v24, 0x3f167918, v4
	v_mul_f32_e32 v39, 0x3f4f1bbd, v18
	v_mul_f32_e32 v40, 0xbe9e377a, v3
	v_fmac_f32_e32 v26, 0x3f4f1bbd, v13
	v_dual_sub_f32 v18, v25, v37 :: v_dual_and_b32 v3, 0xff, v38
	s_delay_alu instid0(VALU_DEP_4) | instskip(SKIP_1) | instid1(VALU_DEP_4)
	v_fmac_f32_e32 v39, 0x3f167918, v13
	v_dual_add_f32 v13, v29, v41 :: v_dual_fmac_f32 v24, 0x3e9e377a, v6
	v_add_f32_e32 v6, v28, v26
	s_delay_alu instid0(VALU_DEP_4) | instskip(NEXT) | instid1(VALU_DEP_4)
	v_mul_lo_u16 v3, 0xcd, v3
	v_sub_f32_e32 v15, v19, v39
	s_delay_alu instid0(VALU_DEP_4) | instskip(NEXT) | instid1(VALU_DEP_1)
	v_dual_add_f32 v7, v19, v39 :: v_dual_mul_f32 v30, 0xbf737871, v24
	v_fmac_f32_e32 v30, 0x3e9e377a, v20
	v_mul_f32_e32 v20, 0x3f737871, v20
	s_delay_alu instid0(VALU_DEP_2) | instskip(NEXT) | instid1(VALU_DEP_2)
	v_sub_f32_e32 v16, v27, v30
	v_fmac_f32_e32 v20, 0x3e9e377a, v24
	v_lshrrev_b16 v24, 11, v3
	s_delay_alu instid0(VALU_DEP_2) | instskip(SKIP_3) | instid1(VALU_DEP_3)
	v_add_f32_e32 v9, v17, v20
	v_dual_add_f32 v4, v11, v12 :: v_dual_fmac_f32 v31, 0xbe9e377a, v2
	v_fmac_f32_e32 v40, 0x3f737871, v2
	v_dual_sub_f32 v2, v22, v14 :: v_dual_sub_f32 v17, v17, v20
	v_add_f32_e32 v4, v4, v10
	v_add_f32_e32 v12, v25, v37
	s_delay_alu instid0(VALU_DEP_4) | instskip(SKIP_1) | instid1(VALU_DEP_4)
	v_add_f32_e32 v11, v1, v40
	v_sub_f32_e32 v1, v1, v40
	v_add_f32_e32 v36, v4, v8
	v_add_f32_e32 v4, v22, v14
	v_and_b32_e32 v22, 0xff, v21
	v_add_f32_e32 v8, v27, v30
	s_delay_alu instid0(VALU_DEP_4) | instskip(SKIP_4) | instid1(VALU_DEP_3)
	v_dual_sub_f32 v14, v28, v26 :: v_dual_add_f32 v5, v23, v36
	v_sub_f32_e32 v3, v23, v36
	v_mul_u32_u24_e32 v23, 10, v38
	v_mul_lo_u16 v19, 0xcd, v22
	v_mul_lo_u16 v22, v24, 10
	v_lshl_add_u32 v20, v23, 3, 0
	s_delay_alu instid0(VALU_DEP_3) | instskip(NEXT) | instid1(VALU_DEP_3)
	v_lshrrev_b16 v30, 11, v19
	v_sub_nc_u16 v22, v38, v22
	v_add_f32_e32 v10, v0, v31
	ds_store_2addr_b64 v20, v[4:5], v[6:7] offset1:1
	ds_store_2addr_b64 v20, v[8:9], v[10:11] offset0:2 offset1:3
	v_and_b32_e32 v5, 0xff, v22
	v_mul_lo_u16 v4, v30, 10
	v_dual_sub_f32 v0, v0, v31 :: v_dual_sub_f32 v19, v29, v41
	ds_store_2addr_b64 v20, v[12:13], v[2:3] offset0:4 offset1:5
	ds_store_2addr_b64 v20, v[14:15], v[16:17] offset0:6 offset1:7
	;; [unrolled: 1-line block ×3, first 2 shown]
	v_sub_nc_u16 v0, v21, v4
	v_lshlrev_b32_e32 v4, 5, v5
	global_wb scope:SCOPE_SE
	s_wait_dscnt 0x0
	s_wait_kmcnt 0x0
	s_barrier_signal -1
	s_barrier_wait -1
	v_and_b32_e32 v18, 0xff, v0
	global_inv scope:SCOPE_SE
	global_load_b128 v[0:3], v4, s[8:9]
	v_mad_i32_i24 v19, 0xffffffb8, v38, v20
	v_lshlrev_b32_e32 v5, 3, v5
	v_lshlrev_b32_e32 v14, 5, v18
	s_clause 0x2
	global_load_b128 v[6:9], v4, s[8:9] offset:16
	global_load_b128 v[10:13], v14, s[8:9]
	global_load_b128 v[14:17], v14, s[8:9] offset:16
	v_add_nc_u32_e32 v31, 0x800, v19
	v_add_nc_u32_e32 v37, 0x1000, v19
	;; [unrolled: 1-line block ×3, first 2 shown]
	v_lshl_add_u32 v21, v21, 3, 0
	ds_load_2addr_b64 v[39:42], v31 offset0:169 offset1:254
	ds_load_2addr_b64 v[43:46], v37 offset0:83 offset1:168
	;; [unrolled: 1-line block ×3, first 2 shown]
	s_wait_loadcnt_dscnt 0x202
	v_dual_mul_f32 v37, v7, v42 :: v_dual_and_b32 v36, 0xffff, v24
	ds_load_2addr_b64 v[22:25], v19 offset1:170
	s_wait_dscnt 0x2
	v_mul_f32_e32 v47, v9, v46
	v_dual_fmac_f32 v37, v6, v41 :: v_dual_and_b32 v4, 0xffff, v30
	v_mul_u32_u24_e32 v30, 0x190, v36
	s_wait_loadcnt 0x1
	v_mul_f32_e32 v49, v40, v13
	v_fmac_f32_e32 v47, v8, v45
	v_mul_u32_u24_e32 v31, 0x190, v4
	v_dual_mul_f32 v13, v39, v13 :: v_dual_lshlrev_b32 v36, 3, v18
	s_delay_alu instid0(VALU_DEP_4)
	v_fmac_f32_e32 v49, v39, v12
	v_add3_u32 v30, 0, v30, v5
	ds_load_b64 v[4:5], v21
	ds_load_b64 v[18:19], v19 offset:6120
	v_mul_f32_e32 v9, v9, v45
	v_add3_u32 v21, 0, v31, v36
	v_mul_f32_e32 v7, v7, v41
	global_wb scope:SCOPE_SE
	s_wait_loadcnt_dscnt 0x0
	s_barrier_signal -1
	s_barrier_wait -1
	global_inv scope:SCOPE_SE
	v_mul_f32_e32 v31, v1, v25
	v_mul_f32_e32 v1, v1, v24
	s_delay_alu instid0(VALU_DEP_2) | instskip(NEXT) | instid1(VALU_DEP_2)
	v_fmac_f32_e32 v31, v0, v24
	v_fma_f32 v0, v0, v25, -v1
	v_fma_f32 v24, v8, v46, -v9
	v_mul_f32_e32 v48, v11, v27
	v_mul_f32_e32 v11, v11, v26
	s_delay_alu instid0(VALU_DEP_3) | instskip(SKIP_4) | instid1(VALU_DEP_4)
	v_sub_f32_e32 v25, v0, v24
	v_mul_f32_e32 v51, v19, v17
	v_mul_f32_e32 v36, v3, v29
	;; [unrolled: 1-line block ×4, first 2 shown]
	v_fmac_f32_e32 v51, v18, v16
	s_delay_alu instid0(VALU_DEP_4) | instskip(NEXT) | instid1(VALU_DEP_4)
	v_fmac_f32_e32 v36, v2, v28
	v_fma_f32 v1, v2, v29, -v3
	v_fma_f32 v3, v6, v42, -v7
	;; [unrolled: 1-line block ×3, first 2 shown]
	v_add_f32_e32 v11, v31, v47
	v_dual_mul_f32 v50, v44, v15 :: v_dual_sub_f32 v9, v31, v36
	v_dual_mul_f32 v15, v43, v15 :: v_dual_fmac_f32 v48, v10, v26
	v_fma_f32 v7, v40, v12, -v13
	s_delay_alu instid0(VALU_DEP_3) | instskip(NEXT) | instid1(VALU_DEP_3)
	v_dual_sub_f32 v13, v36, v31 :: v_dual_fmac_f32 v50, v43, v14
	v_fma_f32 v14, v44, v14, -v15
	v_fma_f32 v15, v19, v16, -v17
	v_dual_sub_f32 v19, v0, v1 :: v_dual_add_f32 v6, v22, v31
	v_dual_add_f32 v17, v23, v0 :: v_dual_add_f32 v8, v36, v37
	v_sub_f32_e32 v27, v31, v47
	v_dual_sub_f32 v10, v47, v37 :: v_dual_sub_f32 v29, v24, v3
	v_dual_sub_f32 v16, v37, v47 :: v_dual_sub_f32 v39, v3, v24
	v_dual_add_f32 v18, v1, v3 :: v_dual_sub_f32 v43, v7, v14
	v_dual_sub_f32 v26, v1, v3 :: v_dual_add_f32 v31, v0, v24
	v_dual_sub_f32 v28, v36, v37 :: v_dual_add_f32 v41, v49, v50
	v_dual_sub_f32 v0, v1, v0 :: v_dual_sub_f32 v45, v51, v50
	v_dual_add_f32 v40, v4, v48 :: v_dual_sub_f32 v53, v50, v51
	v_dual_sub_f32 v42, v2, v15 :: v_dual_add_f32 v55, v7, v14
	v_dual_sub_f32 v44, v48, v49 :: v_dual_sub_f32 v57, v2, v7
	v_dual_add_f32 v46, v48, v51 :: v_dual_add_f32 v61, v9, v10
	v_dual_sub_f32 v52, v49, v48 :: v_dual_add_f32 v59, v2, v15
	v_dual_add_f32 v54, v5, v2 :: v_dual_add_f32 v29, v19, v29
	v_dual_sub_f32 v48, v48, v51 :: v_dual_add_f32 v1, v17, v1
	v_add_f32_e32 v36, v6, v36
	v_fma_f32 v12, -0.5, v8, v22
	v_fma_f32 v10, -0.5, v11, v22
	v_dual_add_f32 v22, v13, v16 :: v_dual_add_f32 v17, v54, v7
	v_fma_f32 v13, -0.5, v18, v23
	v_sub_f32_e32 v56, v49, v50
	v_sub_f32_e32 v58, v15, v14
	;; [unrolled: 1-line block ×4, first 2 shown]
	v_fma_f32 v11, -0.5, v31, v23
	v_add_f32_e32 v23, v0, v39
	v_fma_f32 v6, -0.5, v41, v4
	v_fma_f32 v4, -0.5, v46, v4
	v_add_f32_e32 v39, v52, v53
	v_fma_f32 v7, -0.5, v55, v5
	v_dual_fmac_f32 v5, -0.5, v59 :: v_dual_add_f32 v36, v36, v37
	v_add_f32_e32 v1, v1, v3
	v_dual_fmamk_f32 v3, v27, 0x3f737871, v13 :: v_dual_add_f32 v0, v40, v49
	v_add_f32_e32 v41, v2, v60
	v_dual_add_f32 v31, v44, v45 :: v_dual_add_f32 v40, v57, v58
	v_dual_fmac_f32 v13, 0xbf737871, v27 :: v_dual_fmamk_f32 v2, v25, 0xbf737871, v12
	v_fmamk_f32 v9, v28, 0xbf737871, v11
	v_dual_fmac_f32 v12, 0x3f737871, v25 :: v_dual_fmac_f32 v11, 0x3f737871, v28
	v_dual_fmamk_f32 v8, v26, 0x3f737871, v10 :: v_dual_add_f32 v37, v0, v50
	v_fmac_f32_e32 v10, 0xbf737871, v26
	v_dual_fmamk_f32 v16, v42, 0xbf737871, v6 :: v_dual_fmamk_f32 v19, v56, 0xbf737871, v5
	v_fmac_f32_e32 v6, 0x3f737871, v42
	v_dual_fmamk_f32 v18, v43, 0x3f737871, v4 :: v_dual_fmac_f32 v5, 0x3f737871, v56
	v_dual_fmac_f32 v4, 0xbf737871, v43 :: v_dual_add_f32 v1, v1, v24
	v_dual_add_f32 v44, v17, v14 :: v_dual_fmac_f32 v3, 0x3f167918, v28
	v_fmamk_f32 v17, v48, 0x3f737871, v7
	v_dual_fmac_f32 v7, 0xbf737871, v48 :: v_dual_add_f32 v0, v36, v47
	v_dual_fmac_f32 v13, 0xbf167918, v28 :: v_dual_fmac_f32 v2, 0xbf167918, v26
	v_fmac_f32_e32 v11, 0xbf167918, v27
	v_dual_fmac_f32 v12, 0x3f167918, v26 :: v_dual_fmac_f32 v9, 0x3f167918, v27
	v_dual_fmac_f32 v8, 0xbf167918, v25 :: v_dual_add_f32 v15, v44, v15
	v_dual_fmac_f32 v10, 0x3f167918, v25 :: v_dual_fmac_f32 v17, 0x3f167918, v56
	v_dual_add_f32 v14, v37, v51 :: v_dual_fmac_f32 v7, 0xbf167918, v56
	v_dual_fmac_f32 v16, 0xbf167918, v43 :: v_dual_fmac_f32 v5, 0xbf167918, v48
	v_dual_fmac_f32 v6, 0x3f167918, v43 :: v_dual_fmac_f32 v19, 0x3f167918, v48
	v_fmac_f32_e32 v18, 0xbf167918, v42
	v_fmac_f32_e32 v4, 0x3f167918, v42
	v_dual_fmac_f32 v2, 0x3e9e377a, v61 :: v_dual_fmac_f32 v9, 0x3e9e377a, v23
	v_dual_fmac_f32 v12, 0x3e9e377a, v61 :: v_dual_fmac_f32 v11, 0x3e9e377a, v23
	;; [unrolled: 1-line block ×8, first 2 shown]
	ds_store_2addr_b64 v30, v[0:1], v[2:3] offset1:10
	ds_store_2addr_b64 v30, v[8:9], v[10:11] offset0:20 offset1:30
	ds_store_b64 v30, v[12:13] offset:320
	ds_store_2addr_b64 v21, v[14:15], v[16:17] offset1:10
	ds_store_2addr_b64 v21, v[18:19], v[4:5] offset0:20 offset1:30
	ds_store_b64 v21, v[6:7] offset:320
	global_wb scope:SCOPE_SE
	s_wait_dscnt 0x0
	s_barrier_signal -1
	s_barrier_wait -1
	global_inv scope:SCOPE_SE
                                        ; implicit-def: $vgpr37
                                        ; implicit-def: $vgpr31
                                        ; implicit-def: $vgpr27
                                        ; implicit-def: $vgpr23
	s_and_saveexec_b32 s1, s0
	s_cbranch_execz .LBB0_15
; %bb.14:
	v_mul_i32_i24_e32 v0, 0xffffffb8, v38
	s_delay_alu instid0(VALU_DEP_1) | instskip(NEXT) | instid1(VALU_DEP_1)
	v_add_nc_u32_e32 v36, v20, v0
	v_add_nc_u32_e32 v4, 0x800, v36
	;; [unrolled: 1-line block ×4, first 2 shown]
	ds_load_2addr_b64 v[0:3], v36 offset1:50
	ds_load_2addr_b64 v[8:11], v36 offset0:100 offset1:150
	ds_load_2addr_b64 v[12:15], v36 offset0:200 offset1:250
	;; [unrolled: 1-line block ×7, first 2 shown]
	ds_load_b64 v[36:37], v36 offset:6400
.LBB0_15:
	s_wait_alu 0xfffe
	s_or_b32 exec_lo, exec_lo, s1
	v_cmp_gt_u32_e64 s1, 50, v38
	s_delay_alu instid0(VALU_DEP_1)
	s_and_b32 s1, vcc_lo, s1
	s_wait_alu 0xfffe
	s_and_saveexec_b32 s4, s1
	s_cbranch_execz .LBB0_17
; %bb.16:
	v_dual_mov_b32 v40, 0 :: v_dual_lshlrev_b32 v39, 4, v38
	s_delay_alu instid0(VALU_DEP_1) | instskip(NEXT) | instid1(VALU_DEP_1)
	v_add_nc_u32_e32 v41, 0xfffffce0, v39
	v_cndmask_b32_e64 v39, v41, v39, s0
	s_delay_alu instid0(VALU_DEP_1) | instskip(NEXT) | instid1(VALU_DEP_1)
	v_lshlrev_b64_e32 v[39:40], 3, v[39:40]
	v_add_co_u32 v47, vcc_lo, s8, v39
	s_wait_alu 0xfffd
	s_delay_alu instid0(VALU_DEP_2)
	v_add_co_ci_u32_e32 v48, vcc_lo, s9, v40, vcc_lo
	s_clause 0x7
	global_load_b128 v[39:42], v[47:48], off offset:432
	global_load_b128 v[43:46], v[47:48], off offset:320
	;; [unrolled: 1-line block ×8, first 2 shown]
	v_mul_lo_u32 v47, s3, v34
	v_mul_lo_u32 v48, s2, v35
	v_mad_co_u64_u32 v[34:35], null, s2, v34, 0
	s_delay_alu instid0(VALU_DEP_1) | instskip(NEXT) | instid1(VALU_DEP_1)
	v_add3_u32 v35, v35, v48, v47
	v_lshlrev_b64_e32 v[34:35], 3, v[34:35]
	s_wait_loadcnt_dscnt 0x600
	v_dual_mul_f32 v47, v36, v42 :: v_dual_mul_f32 v58, v3, v44
	v_dual_mul_f32 v48, v2, v44 :: v_dual_mul_f32 v49, v37, v42
	v_mul_f32_e32 v42, v30, v40
	s_wait_loadcnt 0x4
	v_dual_mul_f32 v44, v8, v46 :: v_dual_mul_f32 v59, v11, v73
	v_mul_f32_e32 v60, v9, v46
	v_dual_mul_f32 v50, v31, v40 :: v_dual_mul_f32 v51, v29, v71
	v_mul_f32_e32 v40, v28, v71
	;; [unrolled: 2-line block ×3, first 2 shown]
	v_dual_mul_f32 v61, v13, v75 :: v_dual_mul_f32 v52, v27, v69
	s_wait_loadcnt 0x2
	v_dual_mul_f32 v69, v24, v79 :: v_dual_mul_f32 v62, v15, v81
	v_mul_f32_e32 v75, v14, v81
	s_wait_loadcnt 0x1
	v_dual_mul_f32 v53, v25, v79 :: v_dual_mul_f32 v66, v7, v85
	v_dual_mul_f32 v79, v22, v77 :: v_dual_mul_f32 v64, v17, v83
	v_dual_mul_f32 v81, v16, v83 :: v_dual_fmac_f32 v52, v26, v68
	v_dual_mul_f32 v55, v23, v77 :: v_dual_fmac_f32 v58, v2, v43
	;; [unrolled: 1-line block ×3, first 2 shown]
	s_wait_loadcnt 0x0
	v_dual_mul_f32 v83, v18, v89 :: v_dual_fmac_f32 v64, v16, v82
	v_dual_mul_f32 v65, v19, v89 :: v_dual_fmac_f32 v50, v30, v39
	;; [unrolled: 1-line block ×3, first 2 shown]
	v_mul_f32_e32 v87, v6, v85
	v_dual_mul_f32 v89, v4, v91 :: v_dual_fmac_f32 v66, v6, v84
	v_fma_f32 v163, v3, v43, -v48
	v_fma_f32 v157, v9, v45, -v44
	;; [unrolled: 1-line block ×10, first 2 shown]
	v_mul_f32_e32 v67, v5, v91
	v_dual_fmac_f32 v49, v36, v41 :: v_dual_add_f32 v174, v54, v163
	v_fma_f32 v25, v25, v78, -v69
	v_fma_f32 v107, v15, v80, -v75
	;; [unrolled: 1-line block ×4, first 2 shown]
	v_dual_fmac_f32 v63, v20, v86 :: v_dual_sub_f32 v170, v157, v56
	v_fma_f32 v86, v5, v90, -v89
	v_sub_f32_e32 v46, v60, v50
	v_fma_f32 v19, v7, v84, -v87
	v_add_f32_e32 v160, v23, v102
	v_dual_fmac_f32 v67, v4, v90 :: v_dual_sub_f32 v166, v131, v27
	v_sub_f32_e32 v171, v163, v54
	v_dual_sub_f32 v169, v132, v57 :: v_dual_mul_f32 v158, 0x3eb8f4ab, v170
	v_dual_fmac_f32 v59, v10, v72 :: v_dual_add_f32 v14, v27, v131
	v_dual_fmac_f32 v61, v12, v74 :: v_dual_add_f32 v172, v25, v107
	v_fmac_f32_e32 v51, v28, v70
	v_dual_fmac_f32 v53, v24, v78 :: v_dual_add_f32 v44, v50, v60
	v_dual_sub_f32 v47, v58, v49 :: v_dual_sub_f32 v28, v67, v66
	s_delay_alu instid0(VALU_DEP_4)
	v_dual_add_f32 v15, v57, v132 :: v_dual_add_f32 v42, v52, v61
	v_dual_add_f32 v117, v26, v92 :: v_dual_sub_f32 v164, v107, v25
	v_dual_add_f32 v45, v49, v58 :: v_dual_sub_f32 v162, v102, v23
	v_dual_sub_f32 v161, v92, v26 :: v_dual_mul_f32 v152, 0xbf06c442, v169
	v_sub_f32_e32 v167, v86, v19
	v_add_f32_e32 v48, v66, v67
	s_delay_alu instid0(VALU_DEP_3)
	v_dual_mul_f32 v159, 0xbe3c28d5, v171 :: v_dual_mul_f32 v70, 0xbe3c28d5, v161
	v_dual_mul_f32 v126, 0xbf1a4643, v174 :: v_dual_mul_f32 v95, 0xbf1a4643, v117
	v_fmac_f32_e32 v55, v22, v76
	v_fmac_f32_e32 v65, v18, v88
	v_dual_sub_f32 v36, v61, v52 :: v_dual_sub_f32 v37, v59, v51
	v_mul_f32_e32 v168, 0xbf7ba420, v174
	v_dual_add_f32 v18, v19, v86 :: v_dual_add_f32 v173, v56, v157
	v_dual_add_f32 v40, v55, v64 :: v_dual_add_f32 v41, v53, v62
	v_mul_f32_e32 v88, 0xbe8c1d8e, v117
	v_mul_f32_e32 v20, 0xbf763a35, v161
	v_dual_mul_f32 v110, 0x3f4c4adb, v166 :: v_dual_fmamk_f32 v201, v47, 0x3f4c4adb, v126
	v_dual_mul_f32 v111, 0xbeb8f4ab, v164 :: v_dual_mul_f32 v96, 0xbeb8f4ab, v162
	v_mul_f32_e32 v72, 0xbf763a35, v167
	v_dual_mul_f32 v154, 0xbf7ba420, v15 :: v_dual_fmamk_f32 v3, v45, 0xbf7ba420, v159
	v_dual_add_f32 v43, v51, v59 :: v_dual_mul_f32 v118, 0x3ee437d1, v160
	v_dual_mul_f32 v165, 0x3f6eb680, v173 :: v_dual_mul_f32 v130, 0x3f6eb680, v14
	s_delay_alu instid0(VALU_DEP_3)
	v_dual_mul_f32 v108, 0x3f65296c, v170 :: v_dual_add_f32 v3, v0, v3
	v_dual_mul_f32 v137, 0x3e3c28d5, v169 :: v_dual_fmamk_f32 v2, v47, 0x3e3c28d5, v168
	v_dual_fmamk_f32 v5, v44, 0x3f6eb680, v158 :: v_dual_fmamk_f32 v194, v41, 0x3f6eb680, v111
	v_dual_mul_f32 v120, 0xbf06c442, v171 :: v_dual_add_f32 v201, v1, v201
	v_dual_mul_f32 v113, 0xbe8c1d8e, v173 :: v_dual_fmamk_f32 v200, v48, 0xbe8c1d8e, v72
	v_mul_f32_e32 v135, 0xbf763a35, v171
	v_dual_mul_f32 v133, 0xbf1a4643, v172 :: v_dual_mul_f32 v100, 0xbf1a4643, v14
	v_dual_mul_f32 v109, 0xbf7ee86f, v169 :: v_dual_add_f32 v2, v1, v2
	v_dual_mul_f32 v105, 0xbeb8f4ab, v169 :: v_dual_fmamk_f32 v4, v46, 0xbeb8f4ab, v165
	v_dual_mul_f32 v128, 0xbf59a7d5, v14 :: v_dual_fmamk_f32 v7, v43, 0xbf59a7d5, v152
	v_fmamk_f32 v202, v46, 0xbf763a35, v113
	v_fmamk_f32 v209, v45, 0xbe8c1d8e, v135
	v_dual_mul_f32 v122, 0x3f06c442, v170 :: v_dual_add_f32 v3, v3, v5
	v_fmamk_f32 v184, v45, 0xbf59a7d5, v120
	v_dual_mul_f32 v93, 0xbe3c28d5, v162 :: v_dual_add_f32 v2, v2, v4
	v_fmamk_f32 v191, v36, 0xbf4c4adb, v100
	v_fmamk_f32 v185, v44, 0x3ee437d1, v108
	v_add_f32_e32 v209, v0, v209
	v_fmamk_f32 v4, v44, 0xbf59a7d5, v122
	v_mul_f32_e32 v151, 0xbf7ee86f, v171
	v_add_f32_e32 v3, v3, v7
	v_dual_mul_f32 v75, 0xbeb8f4ab, v161 :: v_dual_add_f32 v184, v0, v184
	v_dual_sub_f32 v31, v62, v53 :: v_dual_mul_f32 v156, 0xbf59a7d5, v15
	v_dual_mul_f32 v17, 0x3f7ee86f, v167 :: v_dual_mul_f32 v74, 0x3f7ee86f, v162
	v_dual_mul_f32 v78, 0xbf59a7d5, v174 :: v_dual_mul_f32 v97, 0xbf59a7d5, v160
	;; [unrolled: 1-line block ×3, first 2 shown]
	v_dual_mul_f32 v73, 0xbf4c4adb, v167 :: v_dual_add_f32 v184, v184, v185
	v_add_f32_e32 v4, v209, v4
	v_dual_fmamk_f32 v185, v45, 0x3dbcf732, v151 :: v_dual_sub_f32 v30, v64, v55
	v_dual_mul_f32 v71, 0x3f65296c, v162 :: v_dual_mul_f32 v24, 0x3f65296c, v167
	v_dual_mul_f32 v76, 0x3ee437d1, v173 :: v_dual_mul_f32 v145, 0x3ee437d1, v14
	;; [unrolled: 1-line block ×3, first 2 shown]
	s_delay_alu instid0(VALU_DEP_4)
	v_dual_fmamk_f32 v6, v37, 0x3f06c442, v156 :: v_dual_add_f32 v185, v0, v185
	v_fmamk_f32 v182, v47, 0x3f06c442, v78
	v_fmamk_f32 v209, v45, 0x3ee437d1, v149
	v_mul_f32_e32 v115, 0xbf4c4adb, v171
	v_dual_mul_f32 v146, 0xbf7ba420, v172 :: v_dual_mul_f32 v83, 0xbf7ba420, v173
	v_dual_mul_f32 v142, 0xbf65296c, v164 :: v_dual_fmamk_f32 v183, v46, 0xbf65296c, v76
	s_delay_alu instid0(VALU_DEP_4) | instskip(SKIP_2) | instid1(VALU_DEP_2)
	v_dual_fmamk_f32 v12, v30, 0xbf65296c, v118 :: v_dual_add_f32 v209, v0, v209
	v_dual_add_f32 v182, v1, v182 :: v_dual_fmamk_f32 v5, v47, 0x3f7ee86f, v87
	v_dual_mul_f32 v121, 0xbf4c4adb, v164 :: v_dual_mul_f32 v136, 0xbf4c4adb, v170
	v_dual_mul_f32 v125, 0xbe3c28d5, v164 :: v_dual_add_f32 v182, v182, v183
	s_delay_alu instid0(VALU_DEP_3) | instskip(SKIP_4) | instid1(VALU_DEP_4)
	v_dual_mul_f32 v176, 0xbf06c442, v167 :: v_dual_add_f32 v5, v1, v5
	v_fmamk_f32 v183, v46, 0x3e3c28d5, v83
	v_dual_fmamk_f32 v10, v31, 0x3f4c4adb, v133 :: v_dual_sub_f32 v29, v65, v63
	v_mul_f32_e32 v150, 0x3f3d2fb0, v14
	v_dual_mul_f32 v16, 0x3dbcf732, v18 :: v_dual_mul_f32 v99, 0x3dbcf732, v15
	v_add_f32_e32 v5, v5, v183
	v_fmamk_f32 v183, v44, 0xbf1a4643, v136
	v_fmamk_f32 v192, v42, 0xbf1a4643, v110
	v_dual_mul_f32 v127, 0x3f6eb680, v15 :: v_dual_mul_f32 v116, 0x3f6eb680, v160
	v_dual_add_f32 v39, v63, v65 :: v_dual_mul_f32 v138, 0x3f2c7751, v166
	s_delay_alu instid0(VALU_DEP_4) | instskip(SKIP_4) | instid1(VALU_DEP_4)
	v_add_f32_e32 v183, v209, v183
	v_fmamk_f32 v189, v43, 0x3dbcf732, v109
	v_mul_f32_e32 v153, 0x3ee437d1, v174
	v_dual_mul_f32 v90, 0x3f2c7751, v161 :: v_dual_mul_f32 v79, 0x3f2c7751, v167
	v_dual_mul_f32 v81, 0x3f7ee86f, v164 :: v_dual_fmamk_f32 v188, v37, 0x3f7ee86f, v99
	v_dual_add_f32 v184, v184, v189 :: v_dual_mul_f32 v69, 0xbf2c7751, v162
	v_fmamk_f32 v8, v36, 0xbf2c7751, v150
	v_dual_mul_f32 v106, 0x3f4c4adb, v161 :: v_dual_add_f32 v201, v201, v202
	s_delay_alu instid0(VALU_DEP_3) | instskip(SKIP_2) | instid1(VALU_DEP_3)
	v_dual_add_f32 v184, v184, v192 :: v_dual_mul_f32 v177, 0x3dbcf732, v117
	v_dual_add_f32 v2, v2, v6 :: v_dual_fmamk_f32 v205, v37, 0x3eb8f4ab, v127
	v_dual_mul_f32 v104, 0x3f763a35, v170 :: v_dual_fmamk_f32 v181, v29, 0x3f763a35, v88
	v_add_f32_e32 v184, v184, v194
	s_delay_alu instid0(VALU_DEP_3) | instskip(NEXT) | instid1(VALU_DEP_3)
	v_dual_fmamk_f32 v196, v40, 0xbf7ba420, v93 :: v_dual_add_f32 v201, v201, v205
	v_dual_mul_f32 v143, 0xbe8c1d8e, v174 :: v_dual_fmamk_f32 v204, v44, 0xbe8c1d8e, v104
	v_dual_mul_f32 v141, 0x3eb8f4ab, v166 :: v_dual_add_f32 v182, v182, v188
	v_dual_mul_f32 v148, 0xbf1a4643, v173 :: v_dual_fmamk_f32 v203, v45, 0xbf1a4643, v115
	v_dual_mul_f32 v175, 0xbf7ee86f, v161 :: v_dual_add_f32 v2, v2, v8
	v_dual_fmamk_f32 v198, v39, 0x3f3d2fb0, v90 :: v_dual_fmamk_f32 v205, v40, 0x3f3d2fb0, v69
	v_add_f32_e32 v184, v184, v196
	s_delay_alu instid0(VALU_DEP_4)
	v_dual_mul_f32 v84, 0xbf06c442, v166 :: v_dual_add_f32 v203, v0, v203
	v_dual_mul_f32 v123, 0x3f2c7751, v169 :: v_dual_mul_f32 v98, 0x3f2c7751, v164
	v_add_f32_e32 v2, v2, v10
	v_dual_add_f32 v182, v182, v191 :: v_dual_fmamk_f32 v191, v31, 0x3e3c28d5, v146
	v_dual_add_f32 v184, v184, v198 :: v_dual_fmamk_f32 v207, v47, 0x3f763a35, v143
	v_mul_f32_e32 v134, 0xbf59a7d5, v173
	v_dual_mul_f32 v112, 0xbf06c442, v162 :: v_dual_add_f32 v203, v203, v204
	s_delay_alu instid0(VALU_DEP_3) | instskip(NEXT) | instid1(VALU_DEP_3)
	v_dual_fmamk_f32 v204, v47, 0x3f65296c, v153 :: v_dual_add_f32 v207, v1, v207
	v_fmamk_f32 v208, v46, 0xbf06c442, v134
	v_dual_fmamk_f32 v189, v43, 0x3f3d2fb0, v123 :: v_dual_mul_f32 v144, 0x3f3d2fb0, v15
	v_mul_f32_e32 v77, 0x3f3d2fb0, v18
	s_delay_alu instid0(VALU_DEP_4) | instskip(NEXT) | instid1(VALU_DEP_4)
	v_dual_mul_f32 v139, 0xbe3c28d5, v170 :: v_dual_add_f32 v204, v1, v204
	v_dual_mul_f32 v178, 0xbf59a7d5, v18 :: v_dual_add_f32 v207, v207, v208
	s_delay_alu instid0(VALU_DEP_4)
	v_dual_fmamk_f32 v9, v42, 0x3f3d2fb0, v138 :: v_dual_add_f32 v4, v4, v189
	v_fmamk_f32 v189, v37, 0xbe3c28d5, v154
	v_fmamk_f32 v208, v46, 0x3f4c4adb, v148
	v_mul_f32_e32 v129, 0xbe8c1d8e, v15
	v_dual_mul_f32 v140, 0x3f763a35, v169 :: v_dual_mul_f32 v103, 0x3f763a35, v166
	v_fmamk_f32 v202, v44, 0xbf7ba420, v139
	s_delay_alu instid0(VALU_DEP_4) | instskip(SKIP_3) | instid1(VALU_DEP_3)
	v_add_f32_e32 v204, v204, v208
	v_fmamk_f32 v188, v37, 0xbf2c7751, v144
	v_dual_mul_f32 v85, 0x3f6eb680, v172 :: v_dual_mul_f32 v114, 0x3f6eb680, v117
	v_mul_f32_e32 v155, 0xbe8c1d8e, v14
	v_dual_add_f32 v185, v185, v202 :: v_dual_add_f32 v188, v207, v188
	v_fmamk_f32 v207, v43, 0xbe8c1d8e, v140
	v_dual_fmamk_f32 v206, v43, 0x3f6eb680, v105 :: v_dual_add_f32 v189, v204, v189
	v_fmamk_f32 v204, v36, 0x3f65296c, v145
	v_fmamk_f32 v193, v31, 0x3eb8f4ab, v85
	s_delay_alu instid0(VALU_DEP_4) | instskip(NEXT) | instid1(VALU_DEP_4)
	v_add_f32_e32 v185, v185, v207
	v_add_f32_e32 v203, v203, v206
	v_dual_mul_f32 v21, 0xbe8c1d8e, v18 :: v_dual_fmamk_f32 v186, v39, 0xbe8c1d8e, v20
	v_add_f32_e32 v188, v188, v204
	v_fmamk_f32 v204, v42, 0x3f6eb680, v141
	v_fmamk_f32 v208, v42, 0xbf59a7d5, v84
	v_dual_mul_f32 v179, 0x3dbcf732, v173 :: v_dual_fmamk_f32 v6, v41, 0x3dbcf732, v81
	v_dual_fmamk_f32 v202, v36, 0x3f06c442, v128 :: v_dual_add_f32 v3, v3, v9
	s_delay_alu instid0(VALU_DEP_4) | instskip(NEXT) | instid1(VALU_DEP_4)
	v_add_f32_e32 v185, v185, v204
	v_dual_add_f32 v203, v203, v208 :: v_dual_mul_f32 v80, 0x3f3d2fb0, v117
	v_mul_f32_e32 v91, 0x3f3d2fb0, v160
	v_dual_mul_f32 v147, 0x3dbcf732, v160 :: v_dual_fmamk_f32 v190, v48, 0x3dbcf732, v17
	s_delay_alu instid0(VALU_DEP_3)
	v_dual_fmamk_f32 v199, v28, 0x3f763a35, v21 :: v_dual_add_f32 v6, v203, v6
	v_fmamk_f32 v209, v31, 0xbf7ee86f, v94
	v_add_f32_e32 v201, v201, v202
	v_dual_mul_f32 v22, 0x3ee437d1, v18 :: v_dual_mul_f32 v101, 0x3ee437d1, v172
	v_dual_fmamk_f32 v187, v28, 0xbf7ee86f, v16 :: v_dual_fmamk_f32 v204, v30, 0xbf7ee86f, v147
	v_fmamk_f32 v206, v37, 0xbf763a35, v129
	v_dual_add_f32 v188, v188, v191 :: v_dual_fmamk_f32 v7, v30, 0x3f2c7751, v91
	v_add_f32_e32 v6, v6, v205
	v_dual_fmamk_f32 v8, v39, 0xbf7ba420, v70 :: v_dual_add_f32 v201, v201, v209
	s_delay_alu instid0(VALU_DEP_3) | instskip(SKIP_2) | instid1(VALU_DEP_4)
	v_dual_add_f32 v5, v5, v206 :: v_dual_add_f32 v188, v188, v204
	v_fmamk_f32 v194, v31, 0x3f65296c, v101
	v_dual_mul_f32 v82, 0xbf7ba420, v160 :: v_dual_mul_f32 v89, 0xbf7ba420, v117
	v_dual_add_f32 v7, v201, v7 :: v_dual_fmamk_f32 v208, v36, 0xbeb8f4ab, v130
	v_fmamk_f32 v206, v43, 0xbf7ba420, v137
	v_fmamk_f32 v13, v40, 0x3ee437d1, v71
	v_dual_mul_f32 v68, 0xbf1a4643, v18 :: v_dual_fmamk_f32 v11, v41, 0xbf1a4643, v121
	s_delay_alu instid0(VALU_DEP_4) | instskip(NEXT) | instid1(VALU_DEP_4)
	v_add_f32_e32 v5, v5, v208
	v_dual_add_f32 v183, v183, v206 :: v_dual_fmamk_f32 v206, v42, 0x3ee437d1, v124
	v_dual_mul_f32 v119, 0x3f3d2fb0, v172 :: v_dual_mul_f32 v180, 0x3f3d2fb0, v174
	v_fmamk_f32 v195, v30, 0x3e3c28d5, v82
	v_dual_fmamk_f32 v192, v41, 0xbf7ba420, v125 :: v_dual_add_f32 v3, v3, v11
	s_delay_alu instid0(VALU_DEP_4) | instskip(SKIP_2) | instid1(VALU_DEP_3)
	v_add_f32_e32 v4, v4, v206
	v_dual_fmamk_f32 v208, v42, 0xbe8c1d8e, v103 :: v_dual_add_f32 v5, v5, v194
	v_dual_fmamk_f32 v197, v29, 0xbf2c7751, v80 :: v_dual_add_f32 v182, v182, v193
	v_add_f32_e32 v4, v4, v192
	v_fmamk_f32 v192, v31, 0xbf2c7751, v119
	s_delay_alu instid0(VALU_DEP_4) | instskip(SKIP_2) | instid1(VALU_DEP_3)
	v_dual_fmamk_f32 v206, v36, 0xbf763a35, v155 :: v_dual_add_f32 v183, v183, v208
	v_fmamk_f32 v194, v41, 0x3f3d2fb0, v98
	v_fmamk_f32 v208, v29, 0x3eb8f4ab, v114
	v_dual_fmamk_f32 v10, v39, 0x3f6eb680, v75 :: v_dual_add_f32 v189, v189, v206
	s_delay_alu instid0(VALU_DEP_3) | instskip(SKIP_2) | instid1(VALU_DEP_3)
	v_dual_fmamk_f32 v206, v40, 0x3dbcf732, v74 :: v_dual_add_f32 v183, v183, v194
	v_dual_fmamk_f32 v209, v41, 0x3ee437d1, v142 :: v_dual_add_f32 v182, v182, v195
	v_fmamk_f32 v195, v40, 0x3f6eb680, v96
	v_dual_add_f32 v4, v4, v206 :: v_dual_fmamk_f32 v203, v30, 0x3f06c442, v97
	v_dual_fmamk_f32 v11, v28, 0x3f4c4adb, v68 :: v_dual_add_f32 v6, v6, v8
	v_dual_fmamk_f32 v194, v28, 0xbf2c7751, v77 :: v_dual_add_f32 v3, v3, v13
	v_add_f32_e32 v2, v2, v12
	v_dual_add_f32 v8, v188, v208 :: v_dual_add_f32 v185, v185, v209
	v_dual_fmamk_f32 v209, v29, 0xbf4c4adb, v95 :: v_dual_add_f32 v10, v4, v10
	v_dual_add_f32 v4, v184, v200 :: v_dual_add_f32 v5, v5, v203
	v_fmamk_f32 v191, v40, 0xbf59a7d5, v112
	v_dual_fmamk_f32 v207, v29, 0x3e3c28d5, v89 :: v_dual_add_f32 v2, v2, v181
	v_fmamk_f32 v193, v48, 0xbf1a4643, v73
	v_dual_add_f32 v189, v189, v192 :: v_dual_fmamk_f32 v192, v39, 0xbf1a4643, v106
	v_dual_add_f32 v181, v3, v186 :: v_dual_add_f32 v186, v5, v209
	v_dual_fmamk_f32 v12, v48, 0x3f3d2fb0, v79 :: v_dual_add_f32 v185, v185, v191
	v_dual_fmamk_f32 v9, v28, 0xbf65296c, v22 :: v_dual_add_f32 v182, v182, v197
	v_add_f32_e32 v7, v7, v207
	v_fmamk_f32 v205, v28, 0x3f06c442, v178
	s_delay_alu instid0(VALU_DEP_4)
	v_add_f32_e32 v185, v185, v192
	v_dual_add_f32 v3, v2, v187 :: v_dual_fmamk_f32 v196, v29, 0x3f7ee86f, v177
	v_add_f32_e32 v183, v183, v195
	v_add_f32_e32 v7, v7, v9
	v_dual_add_f32 v9, v8, v11 :: v_dual_add_f32 v8, v10, v193
	v_dual_add_f32 v10, v185, v12 :: v_dual_fmamk_f32 v13, v30, 0x3eb8f4ab, v116
	v_add_f32_e32 v2, v181, v190
	v_fmamk_f32 v204, v47, 0x3f2c7751, v180
	v_fmamk_f32 v181, v46, 0x3f7ee86f, v179
	v_mul_f32_e32 v193, 0xbf7ba420, v14
	v_add_f32_e32 v13, v189, v13
	s_delay_alu instid0(VALU_DEP_4) | instskip(SKIP_4) | instid1(VALU_DEP_4)
	v_dual_mul_f32 v189, 0xbf4c4adb, v169 :: v_dual_add_f32 v12, v1, v204
	v_mul_f32_e32 v195, 0xbf1a4643, v15
	v_fmamk_f32 v202, v48, 0x3ee437d1, v24
	v_fmamk_f32 v201, v39, 0x3dbcf732, v175
	;; [unrolled: 1-line block ×3, first 2 shown]
	v_dual_add_f32 v12, v12, v181 :: v_dual_fmamk_f32 v181, v37, 0x3f4c4adb, v195
	v_add_f32_e32 v11, v186, v194
	v_dual_add_f32 v13, v13, v196 :: v_dual_mul_f32 v188, 0xbf7ee86f, v170
	s_delay_alu instid0(VALU_DEP_3) | instskip(SKIP_2) | instid1(VALU_DEP_4)
	v_dual_add_f32 v5, v182, v199 :: v_dual_add_f32 v12, v12, v181
	v_fmamk_f32 v181, v36, 0x3e3c28d5, v193
	v_dual_mul_f32 v187, 0xbf2c7751, v171 :: v_dual_add_f32 v6, v6, v202
	v_fmamk_f32 v184, v44, 0x3dbcf732, v188
	v_fmamk_f32 v186, v43, 0xbf1a4643, v189
	s_delay_alu instid0(VALU_DEP_4) | instskip(NEXT) | instid1(VALU_DEP_4)
	v_add_f32_e32 v12, v12, v181
	v_dual_add_f32 v183, v183, v201 :: v_dual_fmamk_f32 v182, v45, 0x3f3d2fb0, v187
	v_mul_f32_e32 v194, 0xbf59a7d5, v172
	v_mul_f32_e32 v181, 0x3f06c442, v164
	;; [unrolled: 1-line block ×3, first 2 shown]
	s_delay_alu instid0(VALU_DEP_4) | instskip(SKIP_1) | instid1(VALU_DEP_2)
	v_dual_add_f32 v163, v1, v163 :: v_dual_add_f32 v182, v0, v182
	v_dual_add_f32 v13, v13, v205 :: v_dual_fmac_f32 v168, 0xbe3c28d5, v47
	v_dual_fmac_f32 v118, 0x3f65296c, v30 :: v_dual_add_f32 v163, v163, v157
	s_delay_alu instid0(VALU_DEP_3) | instskip(SKIP_2) | instid1(VALU_DEP_3)
	v_dual_add_f32 v182, v182, v184 :: v_dual_mul_f32 v157, 0xbeb8f4ab, v171
	v_fmac_f32_e32 v76, 0x3f65296c, v46
	v_fma_f32 v20, 0xbe8c1d8e, v39, -v20
	v_dual_add_f32 v163, v163, v132 :: v_dual_add_f32 v182, v182, v186
	v_mul_f32_e32 v186, 0x3ee437d1, v117
	v_mul_f32_e32 v132, 0xbf2c7751, v170
	v_fmac_f32_e32 v165, 0x3eb8f4ab, v46
	s_delay_alu instid0(VALU_DEP_4)
	v_add_f32_e32 v163, v163, v131
	v_fma_f32 v24, 0x3ee437d1, v48, -v24
	v_fmamk_f32 v197, v29, 0xbf65296c, v186
	v_fmamk_f32 v196, v41, 0xbf59a7d5, v181
	;; [unrolled: 1-line block ×3, first 2 shown]
	v_fmac_f32_e32 v85, 0xbeb8f4ab, v31
	v_fmac_f32_e32 v156, 0xbf06c442, v37
	;; [unrolled: 1-line block ×4, first 2 shown]
	v_dual_add_f32 v12, v12, v191 :: v_dual_fmamk_f32 v191, v30, 0xbf763a35, v185
	v_mul_f32_e32 v184, 0xbe3c28d5, v166
	v_fmac_f32_e32 v77, 0x3f2c7751, v28
	v_fmac_f32_e32 v143, 0xbf763a35, v47
	s_delay_alu instid0(VALU_DEP_4) | instskip(NEXT) | instid1(VALU_DEP_4)
	v_dual_fmac_f32 v134, 0x3f06c442, v46 :: v_dual_add_f32 v191, v12, v191
	v_fmamk_f32 v192, v42, 0xbf7ba420, v184
	v_add_f32_e32 v12, v183, v190
	v_fmac_f32_e32 v78, 0xbf06c442, v47
	s_delay_alu instid0(VALU_DEP_4) | instskip(NEXT) | instid1(VALU_DEP_4)
	v_dual_fmac_f32 v146, 0xbe3c28d5, v31 :: v_dual_add_f32 v197, v191, v197
	v_dual_add_f32 v192, v182, v192 :: v_dual_fmac_f32 v133, 0xbf4c4adb, v31
	v_fmac_f32_e32 v100, 0x3f4c4adb, v36
	v_fmac_f32_e32 v126, 0xbf4c4adb, v47
	;; [unrolled: 1-line block ×3, first 2 shown]
	s_delay_alu instid0(VALU_DEP_4)
	v_add_f32_e32 v190, v192, v196
	v_mul_f32_e32 v196, 0x3f6eb680, v174
	v_mul_f32_e32 v174, 0x3f6eb680, v18
	v_fmac_f32_e32 v128, 0xbf06c442, v36
	v_fmac_f32_e32 v94, 0x3f7ee86f, v31
	;; [unrolled: 1-line block ×3, first 2 shown]
	v_fmamk_f32 v191, v47, 0x3eb8f4ab, v196
	v_fmamk_f32 v199, v28, 0xbeb8f4ab, v174
	v_mul_f32_e32 v182, 0x3f763a35, v162
	v_fmac_f32_e32 v145, 0xbf65296c, v36
	v_fmac_f32_e32 v88, 0xbf763a35, v29
	v_add_f32_e32 v200, v1, v191
	v_mul_f32_e32 v191, 0x3ee437d1, v15
	v_dual_add_f32 v15, v197, v199 :: v_dual_fmamk_f32 v192, v40, 0xbe8c1d8e, v182
	v_fmac_f32_e32 v99, 0xbf7ee86f, v37
	v_fmac_f32_e32 v16, 0x3f7ee86f, v28
	s_delay_alu instid0(VALU_DEP_4)
	v_fmamk_f32 v199, v37, 0x3f65296c, v191
	v_fmac_f32_e32 v144, 0x3f2c7751, v37
	v_add_f32_e32 v192, v190, v192
	v_mul_f32_e32 v190, 0x3f3d2fb0, v173
	v_mul_f32_e32 v173, 0x3eb8f4ab, v167
	v_fmac_f32_e32 v114, 0xbeb8f4ab, v29
	v_fmac_f32_e32 v22, 0x3f65296c, v28
	;; [unrolled: 1-line block ×3, first 2 shown]
	v_fmamk_f32 v201, v46, 0x3f2c7751, v190
	v_fmamk_f32 v202, v48, 0x3f6eb680, v173
	v_mul_f32_e32 v183, 0x3f65296c, v161
	v_fmac_f32_e32 v68, 0xbf4c4adb, v28
	v_fmac_f32_e32 v127, 0xbeb8f4ab, v37
	v_dual_add_f32 v197, v200, v201 :: v_dual_fmac_f32 v130, 0x3eb8f4ab, v36
	v_fmac_f32_e32 v148, 0xbf4c4adb, v46
	v_fmac_f32_e32 v153, 0xbf65296c, v47
	;; [unrolled: 1-line block ×3, first 2 shown]
	s_delay_alu instid0(VALU_DEP_4) | instskip(SKIP_3) | instid1(VALU_DEP_4)
	v_dual_add_f32 v197, v197, v199 :: v_dual_fmamk_f32 v198, v39, 0x3ee437d1, v183
	v_fmac_f32_e32 v154, 0x3e3c28d5, v37
	v_fmac_f32_e32 v155, 0x3f763a35, v36
	v_dual_fmac_f32 v180, 0xbf2c7751, v47 :: v_dual_fmac_f32 v91, 0xbf2c7751, v30
	v_add_f32_e32 v198, v192, v198
	v_mul_f32_e32 v192, 0x3dbcf732, v14
	v_fmac_f32_e32 v179, 0xbf7ee86f, v46
	v_fmac_f32_e32 v195, 0xbf4c4adb, v37
	s_delay_alu instid0(VALU_DEP_4)
	v_dual_fmac_f32 v89, 0xbe3c28d5, v29 :: v_dual_add_f32 v14, v198, v202
	v_add_f32_e32 v198, v0, v58
	v_fmac_f32_e32 v178, 0xbf06c442, v28
	v_fmac_f32_e32 v194, 0x3f06c442, v31
	;; [unrolled: 1-line block ×4, first 2 shown]
	v_dual_add_f32 v60, v198, v60 :: v_dual_fmac_f32 v87, 0xbf7ee86f, v47
	v_fmac_f32_e32 v186, 0x3f65296c, v29
	v_fmac_f32_e32 v190, 0xbf2c7751, v46
	;; [unrolled: 1-line block ×3, first 2 shown]
	s_delay_alu instid0(VALU_DEP_4) | instskip(SKIP_3) | instid1(VALU_DEP_4)
	v_dual_add_f32 v59, v60, v59 :: v_dual_mul_f32 v58, 0xbe8c1d8e, v172
	v_fmamk_f32 v60, v45, 0x3f6eb680, v157
	v_fmac_f32_e32 v191, 0xbf65296c, v37
	v_fma_f32 v37, 0x3f3d2fb0, v44, -v132
	v_add_f32_e32 v59, v59, v61
	s_delay_alu instid0(VALU_DEP_4) | instskip(SKIP_2) | instid1(VALU_DEP_4)
	v_dual_fmamk_f32 v172, v31, 0x3f763a35, v58 :: v_dual_add_f32 v61, v0, v60
	v_mul_f32_e32 v60, 0xbf1a4643, v160
	v_add_f32_e32 v160, v163, v107
	v_dual_add_f32 v59, v59, v62 :: v_dual_fmac_f32 v58, 0xbf763a35, v31
	v_fmac_f32_e32 v174, 0x3eb8f4ab, v28
	s_delay_alu instid0(VALU_DEP_3) | instskip(NEXT) | instid1(VALU_DEP_3)
	v_dual_fmac_f32 v101, 0xbf65296c, v31 :: v_dual_add_f32 v160, v160, v102
	v_add_f32_e32 v59, v59, v64
	v_mul_f32_e32 v102, 0xbf763a35, v164
	v_fmac_f32_e32 v97, 0xbf06c442, v30
	s_delay_alu instid0(VALU_DEP_4) | instskip(NEXT) | instid1(VALU_DEP_4)
	v_dual_fmac_f32 v95, 0x3f4c4adb, v29 :: v_dual_add_f32 v64, v160, v92
	v_add_f32_e32 v59, v59, v65
	v_mul_f32_e32 v131, 0xbf65296c, v169
	v_fmamk_f32 v92, v41, 0xbe8c1d8e, v102
	s_delay_alu instid0(VALU_DEP_4) | instskip(NEXT) | instid1(VALU_DEP_4)
	v_dual_fmac_f32 v119, 0x3f2c7751, v31 :: v_dual_add_f32 v86, v64, v86
	v_add_f32_e32 v59, v59, v67
	s_delay_alu instid0(VALU_DEP_4)
	v_fmamk_f32 v62, v43, 0x3ee437d1, v131
	v_mul_f32_e32 v64, 0xbf06c442, v161
	v_fmac_f32_e32 v116, 0xbeb8f4ab, v30
	v_add_f32_e32 v19, v19, v86
	v_add_f32_e32 v59, v66, v59
	v_fmamk_f32 v199, v36, 0x3f7ee86f, v192
	v_fmamk_f32 v66, v39, 0xbf59a7d5, v64
	s_delay_alu instid0(VALU_DEP_4) | instskip(NEXT) | instid1(VALU_DEP_4)
	v_dual_fmac_f32 v192, 0xbf7ee86f, v36 :: v_dual_add_f32 v19, v26, v19
	v_add_f32_e32 v26, v63, v59
	s_delay_alu instid0(VALU_DEP_4) | instskip(SKIP_1) | instid1(VALU_DEP_4)
	v_add_f32_e32 v171, v197, v199
	v_mul_f32_e32 v59, 0xbf7ba420, v18
	v_dual_fmamk_f32 v163, v30, 0x3f4c4adb, v60 :: v_dual_add_f32 v18, v23, v19
	s_delay_alu instid0(VALU_DEP_4) | instskip(NEXT) | instid1(VALU_DEP_4)
	v_add_f32_e32 v26, v55, v26
	v_dual_add_f32 v170, v171, v172 :: v_dual_fmamk_f32 v171, v44, 0x3f3d2fb0, v132
	v_add_f32_e32 v19, v1, v168
	v_mul_f32_e32 v107, 0xbf7ee86f, v166
	v_mul_f32_e32 v63, 0xbe3c28d5, v167
	s_delay_alu instid0(VALU_DEP_4)
	v_add_f32_e32 v163, v170, v163
	v_add_f32_e32 v61, v61, v171
	;; [unrolled: 1-line block ×3, first 2 shown]
	v_fma_f32 v53, 0x3f6eb680, v44, -v158
	v_fmamk_f32 v55, v48, 0xbf7ba420, v63
	v_add_f32_e32 v25, v25, v18
	v_dual_add_f32 v61, v61, v62 :: v_dual_fmamk_f32 v62, v42, 0x3dbcf732, v107
	v_add_f32_e32 v26, v52, v26
	v_fma_f32 v52, 0xbf59a7d5, v43, -v152
	s_delay_alu instid0(VALU_DEP_4)
	v_add_f32_e32 v25, v27, v25
	v_fma_f32 v36, 0x3ee437d1, v43, -v131
	v_add_f32_e32 v65, v61, v62
	v_mul_f32_e32 v62, 0xbf4c4adb, v162
	v_dual_mul_f32 v61, 0xbf59a7d5, v117 :: v_dual_add_f32 v26, v51, v26
	v_add_f32_e32 v25, v57, v25
	s_delay_alu instid0(VALU_DEP_4) | instskip(NEXT) | instid1(VALU_DEP_4)
	v_add_f32_e32 v65, v65, v92
	v_fmamk_f32 v67, v40, 0xbf1a4643, v62
	s_delay_alu instid0(VALU_DEP_4) | instskip(SKIP_2) | instid1(VALU_DEP_4)
	v_fmamk_f32 v92, v29, 0x3f06c442, v61
	v_dual_add_f32 v26, v50, v26 :: v_dual_fmamk_f32 v23, v28, 0x3e3c28d5, v59
	v_fma_f32 v50, 0xbf1a4643, v41, -v121
	v_add_f32_e32 v65, v65, v67
	s_delay_alu instid0(VALU_DEP_3) | instskip(SKIP_2) | instid1(VALU_DEP_4)
	v_dual_add_f32 v67, v163, v92 :: v_dual_add_f32 v26, v49, v26
	v_add_f32_e32 v25, v56, v25
	v_fma_f32 v49, 0xbf59a7d5, v45, -v120
	v_dual_add_f32 v65, v65, v66 :: v_dual_add_f32 v66, v19, v165
	s_delay_alu instid0(VALU_DEP_4) | instskip(SKIP_1) | instid1(VALU_DEP_4)
	v_add_f32_e32 v19, v67, v23
	v_fma_f32 v23, 0xbf7ba420, v45, -v159
	v_add_f32_e32 v49, v0, v49
	v_fma_f32 v56, 0x3dbcf732, v44, -v188
	v_fmac_f32_e32 v60, 0xbf4c4adb, v30
	v_fmac_f32_e32 v177, 0xbf7ee86f, v29
	v_add_f32_e32 v23, v0, v23
	v_fmac_f32_e32 v185, 0x3f763a35, v30
	v_fma_f32 v57, 0xbf1a4643, v43, -v189
	v_fma_f32 v31, 0x3dbcf732, v42, -v107
	v_fmac_f32_e32 v61, 0xbf06c442, v29
	v_add_f32_e32 v23, v23, v53
	v_fma_f32 v53, 0xbf1a4643, v48, -v73
	v_fmac_f32_e32 v113, 0x3f763a35, v46
	s_delay_alu instid0(VALU_DEP_3) | instskip(SKIP_1) | instid1(VALU_DEP_1)
	v_add_f32_e32 v23, v23, v52
	v_fma_f32 v52, 0x3f3d2fb0, v42, -v138
	v_add_f32_e32 v23, v23, v52
	v_fma_f32 v52, 0x3ee437d1, v44, -v108
	s_delay_alu instid0(VALU_DEP_2) | instskip(SKIP_1) | instid1(VALU_DEP_3)
	v_add_f32_e32 v23, v23, v50
	v_fma_f32 v50, 0x3ee437d1, v40, -v71
	v_add_f32_e32 v49, v49, v52
	v_fma_f32 v52, 0xbf59a7d5, v44, -v122
	s_delay_alu instid0(VALU_DEP_3) | instskip(NEXT) | instid1(VALU_DEP_1)
	v_add_f32_e32 v23, v23, v50
	v_add_f32_e32 v20, v23, v20
	;; [unrolled: 1-line block ×3, first 2 shown]
	s_delay_alu instid0(VALU_DEP_1) | instskip(NEXT) | instid1(VALU_DEP_1)
	v_add_f32_e32 v27, v27, v150
	v_add_f32_e32 v51, v27, v133
	;; [unrolled: 1-line block ×3, first 2 shown]
	v_fma_f32 v54, 0xbf1a4643, v44, -v136
	s_delay_alu instid0(VALU_DEP_3) | instskip(SKIP_1) | instid1(VALU_DEP_2)
	v_add_f32_e32 v25, v51, v118
	v_add_f32_e32 v51, v1, v78
	;; [unrolled: 1-line block ×3, first 2 shown]
	s_delay_alu instid0(VALU_DEP_2) | instskip(SKIP_2) | instid1(VALU_DEP_3)
	v_add_f32_e32 v50, v51, v76
	v_fma_f32 v51, 0x3dbcf732, v43, -v109
	v_fmac_f32_e32 v59, 0xbe3c28d5, v28
	v_add_f32_e32 v23, v50, v99
	s_delay_alu instid0(VALU_DEP_3) | instskip(SKIP_4) | instid1(VALU_DEP_4)
	v_add_f32_e32 v49, v49, v51
	v_fma_f32 v50, 0xbf1a4643, v42, -v110
	v_fma_f32 v51, 0x3dbcf732, v48, -v17
	v_add_f32_e32 v17, v25, v16
	v_add_f32_e32 v23, v23, v100
	;; [unrolled: 1-line block ×3, first 2 shown]
	v_fma_f32 v49, 0x3f6eb680, v41, -v111
	v_add_f32_e32 v16, v20, v51
	s_delay_alu instid0(VALU_DEP_4)
	v_add_f32_e32 v20, v23, v85
	v_fma_f32 v50, 0xbf1a4643, v45, -v115
	v_fma_f32 v51, 0xbe8c1d8e, v48, -v72
	v_add_f32_e32 v23, v25, v49
	v_fma_f32 v25, 0xbf7ba420, v40, -v93
	v_add_f32_e32 v49, v1, v126
	v_add_f32_e32 v20, v20, v82
	;; [unrolled: 1-line block ×3, first 2 shown]
	v_fma_f32 v55, 0x3f3d2fb0, v48, -v79
	v_add_f32_e32 v23, v23, v25
	v_fma_f32 v25, 0x3f3d2fb0, v39, -v90
	v_dual_add_f32 v49, v49, v113 :: v_dual_add_f32 v20, v20, v80
	s_delay_alu instid0(VALU_DEP_2) | instskip(NEXT) | instid1(VALU_DEP_2)
	v_add_f32_e32 v23, v23, v25
	v_add_f32_e32 v25, v49, v127
	v_add_f32_e32 v49, v0, v50
	v_fma_f32 v50, 0xbe8c1d8e, v44, -v104
	s_delay_alu instid0(VALU_DEP_4) | instskip(NEXT) | instid1(VALU_DEP_4)
	v_dual_add_f32 v21, v20, v21 :: v_dual_add_f32 v20, v23, v51
	v_add_f32_e32 v25, v25, v128
	v_fma_f32 v51, 0xbe8c1d8e, v45, -v135
	s_delay_alu instid0(VALU_DEP_4) | instskip(SKIP_1) | instid1(VALU_DEP_4)
	v_add_f32_e32 v49, v49, v50
	v_fma_f32 v50, 0x3f6eb680, v43, -v105
	v_add_f32_e32 v23, v25, v94
	s_delay_alu instid0(VALU_DEP_4) | instskip(NEXT) | instid1(VALU_DEP_3)
	v_add_f32_e32 v51, v0, v51
	v_add_f32_e32 v25, v49, v50
	v_fma_f32 v49, 0xbf59a7d5, v42, -v84
	v_add_f32_e32 v50, v1, v143
	v_add_f32_e32 v23, v23, v91
	;; [unrolled: 1-line block ×3, first 2 shown]
	v_fma_f32 v52, 0x3f3d2fb0, v43, -v123
	v_add_f32_e32 v25, v25, v49
	v_fma_f32 v49, 0x3dbcf732, v41, -v81
	v_dual_add_f32 v50, v50, v134 :: v_dual_add_f32 v23, v23, v89
	s_delay_alu instid0(VALU_DEP_2) | instskip(SKIP_1) | instid1(VALU_DEP_3)
	v_add_f32_e32 v25, v25, v49
	v_fma_f32 v49, 0x3f3d2fb0, v40, -v69
	v_dual_add_f32 v50, v50, v144 :: v_dual_add_f32 v23, v23, v22
	s_delay_alu instid0(VALU_DEP_2) | instskip(SKIP_1) | instid1(VALU_DEP_3)
	v_add_f32_e32 v25, v25, v49
	v_fma_f32 v49, 0xbf7ba420, v39, -v70
	v_add_f32_e32 v50, v50, v145
	s_delay_alu instid0(VALU_DEP_2) | instskip(NEXT) | instid1(VALU_DEP_2)
	v_add_f32_e32 v25, v25, v49
	v_dual_add_f32 v49, v50, v146 :: v_dual_add_f32 v50, v51, v52
	v_fma_f32 v51, 0x3ee437d1, v42, -v124
	v_fma_f32 v52, 0xbf7ba420, v44, -v139
	s_delay_alu instid0(VALU_DEP_4) | instskip(NEXT) | instid1(VALU_DEP_4)
	v_add_f32_e32 v22, v25, v24
	v_add_f32_e32 v49, v49, v147
	v_fma_f32 v25, 0x3dbcf732, v45, -v151
	v_add_f32_e32 v50, v50, v51
	v_fma_f32 v51, 0xbf7ba420, v41, -v125
	s_delay_alu instid0(VALU_DEP_3) | instskip(NEXT) | instid1(VALU_DEP_2)
	v_dual_add_f32 v24, v49, v114 :: v_dual_add_f32 v25, v0, v25
	v_add_f32_e32 v49, v50, v51
	v_fma_f32 v50, 0x3dbcf732, v40, -v74
	v_add_f32_e32 v51, v1, v87
	s_delay_alu instid0(VALU_DEP_4) | instskip(SKIP_1) | instid1(VALU_DEP_4)
	v_add_f32_e32 v25, v25, v52
	v_fma_f32 v52, 0xbe8c1d8e, v43, -v140
	v_add_f32_e32 v49, v49, v50
	v_fma_f32 v50, 0x3f6eb680, v39, -v75
	v_add_f32_e32 v51, v51, v83
	s_delay_alu instid0(VALU_DEP_1) | instskip(SKIP_2) | instid1(VALU_DEP_3)
	v_dual_add_f32 v49, v49, v50 :: v_dual_add_f32 v50, v51, v129
	v_add_f32_e32 v51, v25, v52
	v_fma_f32 v52, 0x3f6eb680, v42, -v141
	v_dual_add_f32 v25, v24, v68 :: v_dual_add_f32 v24, v49, v53
	s_delay_alu instid0(VALU_DEP_4) | instskip(SKIP_1) | instid1(VALU_DEP_4)
	v_add_f32_e32 v50, v50, v130
	v_fma_f32 v53, 0x3ee437d1, v45, -v149
	v_add_f32_e32 v51, v51, v52
	v_fma_f32 v52, 0x3ee437d1, v41, -v142
	s_delay_alu instid0(VALU_DEP_4) | instskip(NEXT) | instid1(VALU_DEP_2)
	v_add_f32_e32 v49, v50, v101
	v_dual_add_f32 v53, v0, v53 :: v_dual_add_f32 v50, v51, v52
	v_add_f32_e32 v52, v1, v153
	v_fma_f32 v51, 0xbf59a7d5, v40, -v112
	s_delay_alu instid0(VALU_DEP_4) | instskip(NEXT) | instid1(VALU_DEP_4)
	v_add_f32_e32 v49, v49, v97
	v_add_f32_e32 v53, v53, v54
	v_fma_f32 v54, 0xbf7ba420, v43, -v137
	v_add_f32_e32 v52, v52, v148
	v_add_f32_e32 v50, v50, v51
	v_fma_f32 v51, 0xbf1a4643, v39, -v106
	v_add_f32_e32 v49, v49, v95
	v_fma_f32 v43, 0x3ee437d1, v39, -v183
	s_delay_alu instid0(VALU_DEP_3) | instskip(NEXT) | instid1(VALU_DEP_3)
	v_dual_add_f32 v52, v52, v154 :: v_dual_add_f32 v51, v50, v51
	v_add_f32_e32 v50, v49, v77
	s_delay_alu instid0(VALU_DEP_2) | instskip(NEXT) | instid1(VALU_DEP_3)
	v_add_f32_e32 v52, v52, v155
	v_add_f32_e32 v49, v51, v55
	v_fma_f32 v55, 0x3f6eb680, v40, -v96
	s_delay_alu instid0(VALU_DEP_3) | instskip(SKIP_3) | instid1(VALU_DEP_3)
	v_dual_add_f32 v51, v52, v119 :: v_dual_add_f32 v52, v53, v54
	v_fma_f32 v53, 0xbe8c1d8e, v42, -v103
	v_add_f32_e32 v54, v1, v180
	v_add_f32_e32 v1, v1, v196
	v_dual_add_f32 v51, v51, v116 :: v_dual_add_f32 v52, v52, v53
	v_fma_f32 v53, 0x3f3d2fb0, v41, -v98
	s_delay_alu instid0(VALU_DEP_2) | instskip(NEXT) | instid1(VALU_DEP_4)
	v_dual_add_f32 v54, v54, v179 :: v_dual_add_f32 v51, v51, v177
	v_add_f32_e32 v1, v1, v190
	s_delay_alu instid0(VALU_DEP_2) | instskip(NEXT) | instid1(VALU_DEP_3)
	v_dual_add_f32 v53, v52, v53 :: v_dual_add_f32 v54, v54, v195
	v_add_f32_e32 v52, v51, v178
	v_fma_f32 v51, 0x3f3d2fb0, v45, -v187
	v_fma_f32 v45, 0x3f6eb680, v45, -v157
	s_delay_alu instid0(VALU_DEP_4) | instskip(SKIP_1) | instid1(VALU_DEP_4)
	v_add_f32_e32 v53, v53, v55
	v_fma_f32 v55, 0x3dbcf732, v39, -v175
	v_dual_add_f32 v54, v54, v193 :: v_dual_add_f32 v51, v0, v51
	s_delay_alu instid0(VALU_DEP_4) | instskip(SKIP_1) | instid1(VALU_DEP_4)
	v_add_f32_e32 v0, v0, v45
	v_fma_f32 v45, 0xbe8c1d8e, v40, -v182
	v_add_f32_e32 v53, v53, v55
	v_fma_f32 v55, 0xbf59a7d5, v48, -v176
	v_add_f32_e32 v54, v54, v194
	v_dual_add_f32 v56, v51, v56 :: v_dual_add_f32 v1, v1, v191
	s_delay_alu instid0(VALU_DEP_3) | instskip(NEXT) | instid1(VALU_DEP_3)
	v_dual_add_f32 v0, v0, v37 :: v_dual_add_f32 v51, v53, v55
	v_add_f32_e32 v47, v54, v185
	s_delay_alu instid0(VALU_DEP_3)
	v_add_f32_e32 v53, v56, v57
	v_fma_f32 v54, 0xbf7ba420, v42, -v184
	v_add_f32_e32 v1, v1, v192
	v_add_f32_e32 v0, v0, v36
	;; [unrolled: 1-line block ×3, first 2 shown]
	v_fma_f32 v40, 0xbf1a4643, v40, -v62
	v_add_f32_e32 v47, v53, v54
	v_fma_f32 v53, 0xbf59a7d5, v41, -v181
	v_add_f32_e32 v30, v0, v31
	v_fma_f32 v31, 0xbe8c1d8e, v41, -v102
	v_fma_f32 v41, 0x3f6eb680, v48, -v173
	;; [unrolled: 1-line block ×3, first 2 shown]
	s_delay_alu instid0(VALU_DEP_3) | instskip(SKIP_1) | instid1(VALU_DEP_2)
	v_dual_add_f32 v44, v47, v53 :: v_dual_add_f32 v31, v30, v31
	v_add_f32_e32 v30, v46, v174
	v_dual_add_f32 v37, v44, v45 :: v_dual_add_nc_u32 v46, 0xfa, v38
	v_add_co_u32 v44, vcc_lo, s6, v34
	s_delay_alu instid0(VALU_DEP_4)
	v_add_f32_e32 v31, v31, v40
	s_wait_alu 0xfffd
	v_add_co_ci_u32_e32 v35, vcc_lo, s7, v35, vcc_lo
	v_add_f32_e32 v36, v37, v43
	v_add_f32_e32 v37, v1, v58
	v_mad_co_u64_u32 v[0:1], null, s16, v38, 0
	s_delay_alu instid0(VALU_DEP_3) | instskip(NEXT) | instid1(VALU_DEP_3)
	v_dual_add_f32 v42, v31, v39 :: v_dual_add_f32 v29, v36, v41
	v_add_f32_e32 v37, v37, v60
	v_lshlrev_b64_e32 v[31:32], 3, v[32:33]
	v_fma_f32 v43, 0xbf7ba420, v48, -v63
	s_delay_alu instid0(VALU_DEP_3)
	v_add_f32_e32 v41, v37, v61
	v_mad_co_u64_u32 v[36:37], null, s17, v38, v[1:2]
	v_add_nc_u32_e32 v37, 50, v38
	v_add_co_u32 v44, vcc_lo, v44, v31
	s_wait_alu 0xfffd
	v_add_co_ci_u32_e32 v45, vcc_lo, v35, v32, vcc_lo
	s_delay_alu instid0(VALU_DEP_3) | instskip(SKIP_1) | instid1(VALU_DEP_1)
	v_mad_co_u64_u32 v[39:40], null, s16, v37, 0
	v_dual_mov_b32 v1, v36 :: v_dual_add_nc_u32 v36, 0x64, v38
	v_lshlrev_b64_e32 v[0:1], 3, v[0:1]
	s_delay_alu instid0(VALU_DEP_2) | instskip(NEXT) | instid1(VALU_DEP_4)
	v_mad_co_u64_u32 v[33:34], null, s16, v36, 0
	v_mov_b32_e32 v28, v40
	s_delay_alu instid0(VALU_DEP_3) | instskip(NEXT) | instid1(VALU_DEP_2)
	v_add_co_u32 v0, vcc_lo, v44, v0
	v_mad_co_u64_u32 v[31:32], null, s17, v37, v[28:29]
	s_delay_alu instid0(VALU_DEP_4) | instskip(SKIP_3) | instid1(VALU_DEP_3)
	v_dual_mov_b32 v28, v34 :: v_dual_add_nc_u32 v37, 0x96, v38
	s_wait_alu 0xfffd
	v_add_co_ci_u32_e32 v1, vcc_lo, v45, v1, vcc_lo
	v_add_f32_e32 v32, v41, v59
	v_mad_co_u64_u32 v[34:35], null, s17, v36, v[28:29]
	v_mad_co_u64_u32 v[35:36], null, s16, v37, 0
	v_dual_mov_b32 v40, v31 :: v_dual_add_nc_u32 v41, 0xc8, v38
	global_store_b64 v[0:1], v[26:27], off
	v_add_f32_e32 v31, v42, v43
	v_lshlrev_b64_e32 v[33:34], 3, v[33:34]
	v_mad_co_u64_u32 v[27:28], null, s16, v41, 0
	v_mov_b32_e32 v26, v36
	v_lshlrev_b64_e32 v[0:1], 3, v[39:40]
	v_mad_co_u64_u32 v[39:40], null, s16, v46, 0
	s_delay_alu instid0(VALU_DEP_3) | instskip(SKIP_1) | instid1(VALU_DEP_4)
	v_mad_co_u64_u32 v[36:37], null, s17, v37, v[26:27]
	v_dual_mov_b32 v26, v28 :: v_dual_add_nc_u32 v37, 0x12c, v38
	v_add_co_u32 v0, vcc_lo, v44, v0
	s_wait_alu 0xfffd
	v_add_co_ci_u32_e32 v1, vcc_lo, v45, v1, vcc_lo
	v_add_co_u32 v33, vcc_lo, v44, v33
	v_mad_co_u64_u32 v[41:42], null, s17, v41, v[26:27]
	v_mad_co_u64_u32 v[42:43], null, s16, v37, 0
	v_mov_b32_e32 v26, v40
	s_wait_alu 0xfffd
	v_add_co_ci_u32_e32 v34, vcc_lo, v45, v34, vcc_lo
	s_clause 0x1
	global_store_b64 v[0:1], v[18:19], off
	global_store_b64 v[33:34], v[14:15], off
	v_mad_co_u64_u32 v[14:15], null, s17, v46, v[26:27]
	v_lshlrev_b64_e32 v[0:1], 3, v[35:36]
	v_dual_mov_b32 v15, v43 :: v_dual_mov_b32 v28, v41
	v_add_nc_u32_e32 v35, 0x1c2, v38
	v_add_nc_u32_e32 v36, 0x1f4, v38
	s_delay_alu instid0(VALU_DEP_4)
	v_add_co_u32 v0, vcc_lo, v44, v0
	v_mov_b32_e32 v40, v14
	v_mad_co_u64_u32 v[14:15], null, s17, v37, v[15:16]
	s_wait_alu 0xfffd
	v_add_co_ci_u32_e32 v1, vcc_lo, v45, v1, vcc_lo
	v_lshlrev_b64_e32 v[18:19], 3, v[27:28]
	v_add_nc_u32_e32 v15, 0x15e, v38
	v_add_nc_u32_e32 v28, 0x190, v38
	global_store_b64 v[0:1], v[12:13], off
	v_mov_b32_e32 v43, v14
	v_lshlrev_b64_e32 v[0:1], 3, v[39:40]
	v_mad_co_u64_u32 v[12:13], null, s16, v15, 0
	v_add_co_u32 v18, vcc_lo, v44, v18
	s_wait_alu 0xfffd
	v_add_co_ci_u32_e32 v19, vcc_lo, v45, v19, vcc_lo
	s_delay_alu instid0(VALU_DEP_4)
	v_add_co_u32 v0, vcc_lo, v44, v0
	s_wait_alu 0xfffd
	v_add_co_ci_u32_e32 v1, vcc_lo, v45, v1, vcc_lo
	global_store_b64 v[18:19], v[10:11], off
	v_mov_b32_e32 v10, v13
	v_lshlrev_b64_e32 v[13:14], 3, v[42:43]
	v_mad_co_u64_u32 v[18:19], null, s16, v28, 0
	global_store_b64 v[0:1], v[8:9], off
	v_mad_co_u64_u32 v[10:11], null, s17, v15, v[10:11]
	v_add_co_u32 v26, vcc_lo, v44, v13
	s_wait_alu 0xfffd
	v_add_co_ci_u32_e32 v27, vcc_lo, v45, v14, vcc_lo
	v_mad_co_u64_u32 v[14:15], null, s16, v35, 0
	v_mov_b32_e32 v11, v19
	v_mov_b32_e32 v13, v10
	global_store_b64 v[26:27], v[6:7], off
	v_add_nc_u32_e32 v26, 0x226, v38
	v_mad_co_u64_u32 v[33:34], null, s17, v28, v[11:12]
	v_mad_co_u64_u32 v[10:11], null, s16, v36, 0
	v_mov_b32_e32 v0, v15
	v_lshlrev_b64_e32 v[6:7], 3, v[12:13]
	s_delay_alu instid0(VALU_DEP_4) | instskip(NEXT) | instid1(VALU_DEP_3)
	v_mov_b32_e32 v19, v33
	v_mad_co_u64_u32 v[0:1], null, s17, v35, v[0:1]
	v_mov_b32_e32 v1, v11
	s_delay_alu instid0(VALU_DEP_4) | instskip(NEXT) | instid1(VALU_DEP_4)
	v_add_co_u32 v6, vcc_lo, v44, v6
	v_lshlrev_b64_e32 v[8:9], 3, v[18:19]
	s_wait_alu 0xfffd
	v_add_co_ci_u32_e32 v7, vcc_lo, v45, v7, vcc_lo
	v_mad_co_u64_u32 v[11:12], null, s17, v36, v[1:2]
	v_mad_co_u64_u32 v[12:13], null, s16, v26, 0
	v_mov_b32_e32 v15, v0
	v_add_co_u32 v0, vcc_lo, v44, v8
	global_store_b64 v[6:7], v[4:5], off
	s_wait_alu 0xfffd
	v_add_co_ci_u32_e32 v1, vcc_lo, v45, v9, vcc_lo
	v_lshlrev_b64_e32 v[5:6], 3, v[14:15]
	v_dual_mov_b32 v4, v13 :: v_dual_add_nc_u32 v9, 0x258, v38
	global_store_b64 v[0:1], v[2:3], off
	v_lshlrev_b64_e32 v[0:1], 3, v[10:11]
	v_add_nc_u32_e32 v11, 0x28a, v38
	v_mad_co_u64_u32 v[2:3], null, s17, v26, v[4:5]
	v_add_co_u32 v3, vcc_lo, v44, v5
	s_wait_alu 0xfffd
	v_add_co_ci_u32_e32 v4, vcc_lo, v45, v6, vcc_lo
	v_add_co_u32 v0, vcc_lo, v44, v0
	s_wait_alu 0xfffd
	v_add_co_ci_u32_e32 v1, vcc_lo, v45, v1, vcc_lo
	v_mov_b32_e32 v13, v2
	v_mad_co_u64_u32 v[5:6], null, s16, v9, 0
	global_store_b64 v[3:4], v[16:17], off
	v_add_nc_u32_e32 v16, 0x320, v38
	global_store_b64 v[0:1], v[20:21], off
	v_lshlrev_b64_e32 v[0:1], 3, v[12:13]
	v_add_nc_u32_e32 v12, 0x2bc, v38
	v_mad_co_u64_u32 v[2:3], null, s16, v11, 0
	v_dual_mov_b32 v4, v6 :: v_dual_add_nc_u32 v15, 0x2ee, v38
	s_delay_alu instid0(VALU_DEP_3) | instskip(SKIP_1) | instid1(VALU_DEP_3)
	v_mad_co_u64_u32 v[7:8], null, s16, v12, 0
	v_add_co_u32 v0, vcc_lo, v44, v0
	v_mad_co_u64_u32 v[9:10], null, s17, v9, v[4:5]
	v_mad_co_u64_u32 v[3:4], null, s17, v11, v[3:4]
	;; [unrolled: 1-line block ×3, first 2 shown]
	v_mov_b32_e32 v4, v8
	s_wait_alu 0xfffd
	v_add_co_ci_u32_e32 v1, vcc_lo, v45, v1, vcc_lo
	v_mov_b32_e32 v6, v9
	v_lshlrev_b64_e32 v[2:3], 3, v[2:3]
	v_mad_co_u64_u32 v[12:13], null, s17, v12, v[4:5]
	v_mad_co_u64_u32 v[13:14], null, s16, v16, 0
	global_store_b64 v[0:1], v[22:23], off
	v_mov_b32_e32 v0, v11
	v_lshlrev_b64_e32 v[4:5], 3, v[5:6]
	v_mov_b32_e32 v8, v12
	s_delay_alu instid0(VALU_DEP_3) | instskip(SKIP_1) | instid1(VALU_DEP_4)
	v_mad_co_u64_u32 v[0:1], null, s17, v15, v[0:1]
	v_mov_b32_e32 v1, v14
	v_add_co_u32 v4, vcc_lo, v44, v4
	s_wait_alu 0xfffd
	v_add_co_ci_u32_e32 v5, vcc_lo, v45, v5, vcc_lo
	s_delay_alu instid0(VALU_DEP_3)
	v_mad_co_u64_u32 v[14:15], null, s17, v16, v[1:2]
	v_mov_b32_e32 v11, v0
	v_lshlrev_b64_e32 v[6:7], 3, v[7:8]
	v_add_co_u32 v0, vcc_lo, v44, v2
	s_wait_alu 0xfffd
	v_add_co_ci_u32_e32 v1, vcc_lo, v45, v3, vcc_lo
	v_lshlrev_b64_e32 v[2:3], 3, v[10:11]
	s_delay_alu instid0(VALU_DEP_4) | instskip(SKIP_3) | instid1(VALU_DEP_4)
	v_add_co_u32 v6, vcc_lo, v44, v6
	v_lshlrev_b64_e32 v[8:9], 3, v[13:14]
	s_wait_alu 0xfffd
	v_add_co_ci_u32_e32 v7, vcc_lo, v45, v7, vcc_lo
	v_add_co_u32 v2, vcc_lo, v44, v2
	s_wait_alu 0xfffd
	v_add_co_ci_u32_e32 v3, vcc_lo, v45, v3, vcc_lo
	v_add_co_u32 v8, vcc_lo, v44, v8
	s_wait_alu 0xfffd
	v_add_co_ci_u32_e32 v9, vcc_lo, v45, v9, vcc_lo
	s_clause 0x4
	global_store_b64 v[4:5], v[24:25], off
	global_store_b64 v[0:1], v[49:50], off
	;; [unrolled: 1-line block ×5, first 2 shown]
.LBB0_17:
	s_nop 0
	s_sendmsg sendmsg(MSG_DEALLOC_VGPRS)
	s_endpgm
	.section	.rodata,"a",@progbits
	.p2align	6, 0x0
	.amdhsa_kernel fft_rtc_back_len850_factors_10_5_17_wgs_85_tpt_85_sp_op_CI_CI_sbrr_dirReg
		.amdhsa_group_segment_fixed_size 0
		.amdhsa_private_segment_fixed_size 0
		.amdhsa_kernarg_size 104
		.amdhsa_user_sgpr_count 2
		.amdhsa_user_sgpr_dispatch_ptr 0
		.amdhsa_user_sgpr_queue_ptr 0
		.amdhsa_user_sgpr_kernarg_segment_ptr 1
		.amdhsa_user_sgpr_dispatch_id 0
		.amdhsa_user_sgpr_private_segment_size 0
		.amdhsa_wavefront_size32 1
		.amdhsa_uses_dynamic_stack 0
		.amdhsa_enable_private_segment 0
		.amdhsa_system_sgpr_workgroup_id_x 1
		.amdhsa_system_sgpr_workgroup_id_y 0
		.amdhsa_system_sgpr_workgroup_id_z 0
		.amdhsa_system_sgpr_workgroup_info 0
		.amdhsa_system_vgpr_workitem_id 0
		.amdhsa_next_free_vgpr 210
		.amdhsa_next_free_sgpr 43
		.amdhsa_reserve_vcc 1
		.amdhsa_float_round_mode_32 0
		.amdhsa_float_round_mode_16_64 0
		.amdhsa_float_denorm_mode_32 3
		.amdhsa_float_denorm_mode_16_64 3
		.amdhsa_fp16_overflow 0
		.amdhsa_workgroup_processor_mode 1
		.amdhsa_memory_ordered 1
		.amdhsa_forward_progress 0
		.amdhsa_round_robin_scheduling 0
		.amdhsa_exception_fp_ieee_invalid_op 0
		.amdhsa_exception_fp_denorm_src 0
		.amdhsa_exception_fp_ieee_div_zero 0
		.amdhsa_exception_fp_ieee_overflow 0
		.amdhsa_exception_fp_ieee_underflow 0
		.amdhsa_exception_fp_ieee_inexact 0
		.amdhsa_exception_int_div_zero 0
	.end_amdhsa_kernel
	.text
.Lfunc_end0:
	.size	fft_rtc_back_len850_factors_10_5_17_wgs_85_tpt_85_sp_op_CI_CI_sbrr_dirReg, .Lfunc_end0-fft_rtc_back_len850_factors_10_5_17_wgs_85_tpt_85_sp_op_CI_CI_sbrr_dirReg
                                        ; -- End function
	.section	.AMDGPU.csdata,"",@progbits
; Kernel info:
; codeLenInByte = 11144
; NumSgprs: 45
; NumVgprs: 210
; ScratchSize: 0
; MemoryBound: 0
; FloatMode: 240
; IeeeMode: 1
; LDSByteSize: 0 bytes/workgroup (compile time only)
; SGPRBlocks: 5
; VGPRBlocks: 26
; NumSGPRsForWavesPerEU: 45
; NumVGPRsForWavesPerEU: 210
; Occupancy: 7
; WaveLimiterHint : 1
; COMPUTE_PGM_RSRC2:SCRATCH_EN: 0
; COMPUTE_PGM_RSRC2:USER_SGPR: 2
; COMPUTE_PGM_RSRC2:TRAP_HANDLER: 0
; COMPUTE_PGM_RSRC2:TGID_X_EN: 1
; COMPUTE_PGM_RSRC2:TGID_Y_EN: 0
; COMPUTE_PGM_RSRC2:TGID_Z_EN: 0
; COMPUTE_PGM_RSRC2:TIDIG_COMP_CNT: 0
	.text
	.p2alignl 7, 3214868480
	.fill 96, 4, 3214868480
	.type	__hip_cuid_63fe8c7c16446719,@object ; @__hip_cuid_63fe8c7c16446719
	.section	.bss,"aw",@nobits
	.globl	__hip_cuid_63fe8c7c16446719
__hip_cuid_63fe8c7c16446719:
	.byte	0                               ; 0x0
	.size	__hip_cuid_63fe8c7c16446719, 1

	.ident	"AMD clang version 19.0.0git (https://github.com/RadeonOpenCompute/llvm-project roc-6.4.0 25133 c7fe45cf4b819c5991fe208aaa96edf142730f1d)"
	.section	".note.GNU-stack","",@progbits
	.addrsig
	.addrsig_sym __hip_cuid_63fe8c7c16446719
	.amdgpu_metadata
---
amdhsa.kernels:
  - .args:
      - .actual_access:  read_only
        .address_space:  global
        .offset:         0
        .size:           8
        .value_kind:     global_buffer
      - .offset:         8
        .size:           8
        .value_kind:     by_value
      - .actual_access:  read_only
        .address_space:  global
        .offset:         16
        .size:           8
        .value_kind:     global_buffer
      - .actual_access:  read_only
        .address_space:  global
        .offset:         24
        .size:           8
        .value_kind:     global_buffer
      - .actual_access:  read_only
        .address_space:  global
        .offset:         32
        .size:           8
        .value_kind:     global_buffer
      - .offset:         40
        .size:           8
        .value_kind:     by_value
      - .actual_access:  read_only
        .address_space:  global
        .offset:         48
        .size:           8
        .value_kind:     global_buffer
      - .actual_access:  read_only
        .address_space:  global
        .offset:         56
        .size:           8
        .value_kind:     global_buffer
      - .offset:         64
        .size:           4
        .value_kind:     by_value
      - .actual_access:  read_only
        .address_space:  global
        .offset:         72
        .size:           8
        .value_kind:     global_buffer
      - .actual_access:  read_only
        .address_space:  global
        .offset:         80
        .size:           8
        .value_kind:     global_buffer
      - .actual_access:  read_only
        .address_space:  global
        .offset:         88
        .size:           8
        .value_kind:     global_buffer
      - .actual_access:  write_only
        .address_space:  global
        .offset:         96
        .size:           8
        .value_kind:     global_buffer
    .group_segment_fixed_size: 0
    .kernarg_segment_align: 8
    .kernarg_segment_size: 104
    .language:       OpenCL C
    .language_version:
      - 2
      - 0
    .max_flat_workgroup_size: 85
    .name:           fft_rtc_back_len850_factors_10_5_17_wgs_85_tpt_85_sp_op_CI_CI_sbrr_dirReg
    .private_segment_fixed_size: 0
    .sgpr_count:     45
    .sgpr_spill_count: 0
    .symbol:         fft_rtc_back_len850_factors_10_5_17_wgs_85_tpt_85_sp_op_CI_CI_sbrr_dirReg.kd
    .uniform_work_group_size: 1
    .uses_dynamic_stack: false
    .vgpr_count:     210
    .vgpr_spill_count: 0
    .wavefront_size: 32
    .workgroup_processor_mode: 1
amdhsa.target:   amdgcn-amd-amdhsa--gfx1201
amdhsa.version:
  - 1
  - 2
...

	.end_amdgpu_metadata
